;; amdgpu-corpus repo=ROCm/rocFFT kind=compiled arch=gfx1201 opt=O3
	.text
	.amdgcn_target "amdgcn-amd-amdhsa--gfx1201"
	.amdhsa_code_object_version 6
	.protected	fft_rtc_back_len3200_factors_10_10_4_4_2_wgs_160_tpt_160_halfLds_half_op_CI_CI_sbrr_dirReg ; -- Begin function fft_rtc_back_len3200_factors_10_10_4_4_2_wgs_160_tpt_160_halfLds_half_op_CI_CI_sbrr_dirReg
	.globl	fft_rtc_back_len3200_factors_10_10_4_4_2_wgs_160_tpt_160_halfLds_half_op_CI_CI_sbrr_dirReg
	.p2align	8
	.type	fft_rtc_back_len3200_factors_10_10_4_4_2_wgs_160_tpt_160_halfLds_half_op_CI_CI_sbrr_dirReg,@function
fft_rtc_back_len3200_factors_10_10_4_4_2_wgs_160_tpt_160_halfLds_half_op_CI_CI_sbrr_dirReg: ; @fft_rtc_back_len3200_factors_10_10_4_4_2_wgs_160_tpt_160_halfLds_half_op_CI_CI_sbrr_dirReg
; %bb.0:
	s_clause 0x2
	s_load_b128 s[12:15], s[0:1], 0x18
	s_load_b128 s[8:11], s[0:1], 0x0
	;; [unrolled: 1-line block ×3, first 2 shown]
	v_mul_u32_u24_e32 v1, 0x19a, v0
	v_mov_b32_e32 v19, 0
	v_mov_b32_e32 v20, 0
	s_wait_kmcnt 0x0
	s_load_b64 s[18:19], s[12:13], 0x0
	s_load_b64 s[16:17], s[14:15], 0x0
	v_lshrrev_b32_e32 v2, 16, v1
	v_mov_b32_e32 v1, 0
	v_cmp_lt_u64_e64 s2, s[10:11], 2
	s_delay_alu instid0(VALU_DEP_2) | instskip(NEXT) | instid1(VALU_DEP_2)
	v_dual_mov_b32 v8, v1 :: v_dual_add_nc_u32 v7, ttmp9, v2
	s_and_b32 vcc_lo, exec_lo, s2
	s_cbranch_vccnz .LBB0_8
; %bb.1:
	s_load_b64 s[2:3], s[0:1], 0x10
	v_mov_b32_e32 v19, 0
	v_mov_b32_e32 v20, 0
	s_delay_alu instid0(VALU_DEP_2)
	v_mov_b32_e32 v3, v19
	s_add_nc_u64 s[20:21], s[14:15], 8
	s_add_nc_u64 s[22:23], s[12:13], 8
	s_mov_b64 s[24:25], 1
	v_mov_b32_e32 v4, v20
	s_wait_kmcnt 0x0
	s_add_nc_u64 s[26:27], s[2:3], 8
	s_mov_b32 s3, 0
.LBB0_2:                                ; =>This Inner Loop Header: Depth=1
	s_load_b64 s[28:29], s[26:27], 0x0
                                        ; implicit-def: $vgpr5_vgpr6
	s_mov_b32 s2, exec_lo
	s_wait_kmcnt 0x0
	v_or_b32_e32 v2, s29, v8
	s_delay_alu instid0(VALU_DEP_1)
	v_cmpx_ne_u64_e32 0, v[1:2]
	s_wait_alu 0xfffe
	s_xor_b32 s30, exec_lo, s2
	s_cbranch_execz .LBB0_4
; %bb.3:                                ;   in Loop: Header=BB0_2 Depth=1
	s_cvt_f32_u32 s2, s28
	s_cvt_f32_u32 s31, s29
	s_sub_nc_u64 s[36:37], 0, s[28:29]
	s_wait_alu 0xfffe
	s_delay_alu instid0(SALU_CYCLE_1) | instskip(SKIP_1) | instid1(SALU_CYCLE_2)
	s_fmamk_f32 s2, s31, 0x4f800000, s2
	s_wait_alu 0xfffe
	v_s_rcp_f32 s2, s2
	s_delay_alu instid0(TRANS32_DEP_1) | instskip(SKIP_1) | instid1(SALU_CYCLE_2)
	s_mul_f32 s2, s2, 0x5f7ffffc
	s_wait_alu 0xfffe
	s_mul_f32 s31, s2, 0x2f800000
	s_wait_alu 0xfffe
	s_delay_alu instid0(SALU_CYCLE_2) | instskip(SKIP_1) | instid1(SALU_CYCLE_2)
	s_trunc_f32 s31, s31
	s_wait_alu 0xfffe
	s_fmamk_f32 s2, s31, 0xcf800000, s2
	s_cvt_u32_f32 s35, s31
	s_wait_alu 0xfffe
	s_delay_alu instid0(SALU_CYCLE_1) | instskip(SKIP_1) | instid1(SALU_CYCLE_2)
	s_cvt_u32_f32 s34, s2
	s_wait_alu 0xfffe
	s_mul_u64 s[38:39], s[36:37], s[34:35]
	s_wait_alu 0xfffe
	s_mul_hi_u32 s41, s34, s39
	s_mul_i32 s40, s34, s39
	s_mul_hi_u32 s2, s34, s38
	s_mul_i32 s33, s35, s38
	s_wait_alu 0xfffe
	s_add_nc_u64 s[40:41], s[2:3], s[40:41]
	s_mul_hi_u32 s31, s35, s38
	s_mul_hi_u32 s42, s35, s39
	s_add_co_u32 s2, s40, s33
	s_wait_alu 0xfffe
	s_add_co_ci_u32 s2, s41, s31
	s_mul_i32 s38, s35, s39
	s_add_co_ci_u32 s39, s42, 0
	s_wait_alu 0xfffe
	s_add_nc_u64 s[38:39], s[2:3], s[38:39]
	s_wait_alu 0xfffe
	v_add_co_u32 v2, s2, s34, s38
	s_delay_alu instid0(VALU_DEP_1) | instskip(SKIP_1) | instid1(VALU_DEP_1)
	s_cmp_lg_u32 s2, 0
	s_add_co_ci_u32 s35, s35, s39
	v_readfirstlane_b32 s34, v2
	s_wait_alu 0xfffe
	s_delay_alu instid0(VALU_DEP_1)
	s_mul_u64 s[36:37], s[36:37], s[34:35]
	s_wait_alu 0xfffe
	s_mul_hi_u32 s39, s34, s37
	s_mul_i32 s38, s34, s37
	s_mul_hi_u32 s2, s34, s36
	s_mul_i32 s33, s35, s36
	s_wait_alu 0xfffe
	s_add_nc_u64 s[38:39], s[2:3], s[38:39]
	s_mul_hi_u32 s31, s35, s36
	s_mul_hi_u32 s34, s35, s37
	s_wait_alu 0xfffe
	s_add_co_u32 s2, s38, s33
	s_add_co_ci_u32 s2, s39, s31
	s_mul_i32 s36, s35, s37
	s_add_co_ci_u32 s37, s34, 0
	s_wait_alu 0xfffe
	s_add_nc_u64 s[36:37], s[2:3], s[36:37]
	s_wait_alu 0xfffe
	v_add_co_u32 v2, s2, v2, s36
	s_delay_alu instid0(VALU_DEP_1) | instskip(SKIP_1) | instid1(VALU_DEP_1)
	s_cmp_lg_u32 s2, 0
	s_add_co_ci_u32 s2, s35, s37
	v_mul_hi_u32 v13, v7, v2
	s_wait_alu 0xfffe
	v_mad_co_u64_u32 v[5:6], null, v7, s2, 0
	v_mad_co_u64_u32 v[9:10], null, v8, v2, 0
	;; [unrolled: 1-line block ×3, first 2 shown]
	s_delay_alu instid0(VALU_DEP_3) | instskip(SKIP_1) | instid1(VALU_DEP_4)
	v_add_co_u32 v2, vcc_lo, v13, v5
	s_wait_alu 0xfffd
	v_add_co_ci_u32_e32 v5, vcc_lo, 0, v6, vcc_lo
	s_delay_alu instid0(VALU_DEP_2) | instskip(SKIP_1) | instid1(VALU_DEP_2)
	v_add_co_u32 v2, vcc_lo, v2, v9
	s_wait_alu 0xfffd
	v_add_co_ci_u32_e32 v2, vcc_lo, v5, v10, vcc_lo
	s_wait_alu 0xfffd
	v_add_co_ci_u32_e32 v5, vcc_lo, 0, v12, vcc_lo
	s_delay_alu instid0(VALU_DEP_2) | instskip(SKIP_1) | instid1(VALU_DEP_2)
	v_add_co_u32 v2, vcc_lo, v2, v11
	s_wait_alu 0xfffd
	v_add_co_ci_u32_e32 v9, vcc_lo, 0, v5, vcc_lo
	s_delay_alu instid0(VALU_DEP_2) | instskip(SKIP_1) | instid1(VALU_DEP_3)
	v_mul_lo_u32 v10, s29, v2
	v_mad_co_u64_u32 v[5:6], null, s28, v2, 0
	v_mul_lo_u32 v11, s28, v9
	s_delay_alu instid0(VALU_DEP_2) | instskip(NEXT) | instid1(VALU_DEP_2)
	v_sub_co_u32 v5, vcc_lo, v7, v5
	v_add3_u32 v6, v6, v11, v10
	s_delay_alu instid0(VALU_DEP_1) | instskip(SKIP_1) | instid1(VALU_DEP_1)
	v_sub_nc_u32_e32 v10, v8, v6
	s_wait_alu 0xfffd
	v_subrev_co_ci_u32_e64 v10, s2, s29, v10, vcc_lo
	v_add_co_u32 v11, s2, v2, 2
	s_wait_alu 0xf1ff
	v_add_co_ci_u32_e64 v12, s2, 0, v9, s2
	v_sub_co_u32 v13, s2, v5, s28
	v_sub_co_ci_u32_e32 v6, vcc_lo, v8, v6, vcc_lo
	s_wait_alu 0xf1ff
	v_subrev_co_ci_u32_e64 v10, s2, 0, v10, s2
	s_delay_alu instid0(VALU_DEP_3) | instskip(NEXT) | instid1(VALU_DEP_3)
	v_cmp_le_u32_e32 vcc_lo, s28, v13
	v_cmp_eq_u32_e64 s2, s29, v6
	s_wait_alu 0xfffd
	v_cndmask_b32_e64 v13, 0, -1, vcc_lo
	v_cmp_le_u32_e32 vcc_lo, s29, v10
	s_wait_alu 0xfffd
	v_cndmask_b32_e64 v14, 0, -1, vcc_lo
	v_cmp_le_u32_e32 vcc_lo, s28, v5
	;; [unrolled: 3-line block ×3, first 2 shown]
	s_wait_alu 0xfffd
	v_cndmask_b32_e64 v15, 0, -1, vcc_lo
	v_cmp_eq_u32_e32 vcc_lo, s29, v10
	s_wait_alu 0xf1ff
	s_delay_alu instid0(VALU_DEP_2)
	v_cndmask_b32_e64 v5, v15, v5, s2
	s_wait_alu 0xfffd
	v_cndmask_b32_e32 v10, v14, v13, vcc_lo
	v_add_co_u32 v13, vcc_lo, v2, 1
	s_wait_alu 0xfffd
	v_add_co_ci_u32_e32 v14, vcc_lo, 0, v9, vcc_lo
	s_delay_alu instid0(VALU_DEP_3) | instskip(SKIP_1) | instid1(VALU_DEP_2)
	v_cmp_ne_u32_e32 vcc_lo, 0, v10
	s_wait_alu 0xfffd
	v_cndmask_b32_e32 v6, v14, v12, vcc_lo
	v_cndmask_b32_e32 v10, v13, v11, vcc_lo
	v_cmp_ne_u32_e32 vcc_lo, 0, v5
	s_wait_alu 0xfffd
	s_delay_alu instid0(VALU_DEP_3) | instskip(NEXT) | instid1(VALU_DEP_3)
	v_cndmask_b32_e32 v6, v9, v6, vcc_lo
	v_cndmask_b32_e32 v5, v2, v10, vcc_lo
.LBB0_4:                                ;   in Loop: Header=BB0_2 Depth=1
	s_wait_alu 0xfffe
	s_and_not1_saveexec_b32 s2, s30
	s_cbranch_execz .LBB0_6
; %bb.5:                                ;   in Loop: Header=BB0_2 Depth=1
	v_cvt_f32_u32_e32 v2, s28
	s_sub_co_i32 s30, 0, s28
	s_delay_alu instid0(VALU_DEP_1) | instskip(NEXT) | instid1(TRANS32_DEP_1)
	v_rcp_iflag_f32_e32 v2, v2
	v_mul_f32_e32 v2, 0x4f7ffffe, v2
	s_delay_alu instid0(VALU_DEP_1) | instskip(SKIP_1) | instid1(VALU_DEP_1)
	v_cvt_u32_f32_e32 v2, v2
	s_wait_alu 0xfffe
	v_mul_lo_u32 v5, s30, v2
	s_delay_alu instid0(VALU_DEP_1) | instskip(NEXT) | instid1(VALU_DEP_1)
	v_mul_hi_u32 v5, v2, v5
	v_add_nc_u32_e32 v2, v2, v5
	s_delay_alu instid0(VALU_DEP_1) | instskip(NEXT) | instid1(VALU_DEP_1)
	v_mul_hi_u32 v2, v7, v2
	v_mul_lo_u32 v5, v2, s28
	v_add_nc_u32_e32 v6, 1, v2
	s_delay_alu instid0(VALU_DEP_2) | instskip(NEXT) | instid1(VALU_DEP_1)
	v_sub_nc_u32_e32 v5, v7, v5
	v_subrev_nc_u32_e32 v9, s28, v5
	v_cmp_le_u32_e32 vcc_lo, s28, v5
	s_wait_alu 0xfffd
	s_delay_alu instid0(VALU_DEP_2) | instskip(NEXT) | instid1(VALU_DEP_1)
	v_dual_cndmask_b32 v5, v5, v9 :: v_dual_cndmask_b32 v2, v2, v6
	v_cmp_le_u32_e32 vcc_lo, s28, v5
	s_delay_alu instid0(VALU_DEP_2) | instskip(SKIP_1) | instid1(VALU_DEP_1)
	v_add_nc_u32_e32 v6, 1, v2
	s_wait_alu 0xfffd
	v_dual_cndmask_b32 v5, v2, v6 :: v_dual_mov_b32 v6, v1
.LBB0_6:                                ;   in Loop: Header=BB0_2 Depth=1
	s_wait_alu 0xfffe
	s_or_b32 exec_lo, exec_lo, s2
	s_delay_alu instid0(VALU_DEP_1) | instskip(NEXT) | instid1(VALU_DEP_2)
	v_mul_lo_u32 v2, v6, s28
	v_mul_lo_u32 v11, v5, s29
	s_load_b64 s[30:31], s[22:23], 0x0
	v_mad_co_u64_u32 v[9:10], null, v5, s28, 0
	s_load_b64 s[28:29], s[20:21], 0x0
	s_add_nc_u64 s[24:25], s[24:25], 1
	s_add_nc_u64 s[20:21], s[20:21], 8
	s_wait_alu 0xfffe
	v_cmp_ge_u64_e64 s2, s[24:25], s[10:11]
	s_add_nc_u64 s[22:23], s[22:23], 8
	s_add_nc_u64 s[26:27], s[26:27], 8
	v_add3_u32 v2, v10, v11, v2
	v_sub_co_u32 v7, vcc_lo, v7, v9
	s_wait_alu 0xfffd
	s_delay_alu instid0(VALU_DEP_2) | instskip(SKIP_2) | instid1(VALU_DEP_1)
	v_sub_co_ci_u32_e32 v2, vcc_lo, v8, v2, vcc_lo
	s_and_b32 vcc_lo, exec_lo, s2
	s_wait_kmcnt 0x0
	v_mul_lo_u32 v8, s30, v2
	v_mul_lo_u32 v9, s31, v7
	v_mad_co_u64_u32 v[19:20], null, s30, v7, v[19:20]
	v_mul_lo_u32 v2, s28, v2
	v_mul_lo_u32 v10, s29, v7
	v_mad_co_u64_u32 v[3:4], null, s28, v7, v[3:4]
	s_delay_alu instid0(VALU_DEP_4) | instskip(NEXT) | instid1(VALU_DEP_2)
	v_add3_u32 v20, v9, v20, v8
	v_add3_u32 v4, v10, v4, v2
	s_wait_alu 0xfffe
	s_cbranch_vccnz .LBB0_9
; %bb.7:                                ;   in Loop: Header=BB0_2 Depth=1
	v_dual_mov_b32 v8, v6 :: v_dual_mov_b32 v7, v5
	s_branch .LBB0_2
.LBB0_8:
	v_dual_mov_b32 v3, v19 :: v_dual_mov_b32 v4, v20
	s_delay_alu instid0(VALU_DEP_2)
	v_dual_mov_b32 v5, v7 :: v_dual_mov_b32 v6, v8
.LBB0_9:
	s_load_b64 s[0:1], s[0:1], 0x28
	v_mul_hi_u32 v57, 0x199999a, v0
	s_lshl_b64 s[10:11], s[10:11], 3
                                        ; implicit-def: $vgpr1
                                        ; implicit-def: $vgpr11
                                        ; implicit-def: $vgpr7
                                        ; implicit-def: $vgpr8
                                        ; implicit-def: $vgpr9
                                        ; implicit-def: $vgpr12
                                        ; implicit-def: $vgpr15
                                        ; implicit-def: $vgpr14
                                        ; implicit-def: $vgpr16
                                        ; implicit-def: $vgpr18
	s_wait_kmcnt 0x0
	v_cmp_gt_u64_e32 vcc_lo, s[0:1], v[5:6]
	v_cmp_le_u64_e64 s0, s[0:1], v[5:6]
	s_delay_alu instid0(VALU_DEP_1)
	s_and_saveexec_b32 s1, s0
	s_wait_alu 0xfffe
	s_xor_b32 s0, exec_lo, s1
; %bb.10:
	v_mul_u32_u24_e32 v1, 0xa0, v57
                                        ; implicit-def: $vgpr57
                                        ; implicit-def: $vgpr19_vgpr20
	s_delay_alu instid0(VALU_DEP_1) | instskip(NEXT) | instid1(VALU_DEP_1)
	v_sub_nc_u32_e32 v1, v0, v1
                                        ; implicit-def: $vgpr0
	v_add_nc_u32_e32 v11, 0xa0, v1
	v_add_nc_u32_e32 v7, 0x140, v1
	v_add_nc_u32_e32 v8, 0x280, v1
	v_add_nc_u32_e32 v9, 0x3c0, v1
	v_or_b32_e32 v12, 0x500, v1
	v_add_nc_u32_e32 v15, 0x320, v1
	v_add_nc_u32_e32 v14, 0x1e0, v1
	;; [unrolled: 1-line block ×4, first 2 shown]
; %bb.11:
	s_wait_alu 0xfffe
	s_or_saveexec_b32 s1, s0
	s_add_nc_u64 s[2:3], s[14:15], s[10:11]
                                        ; implicit-def: $vgpr42
                                        ; implicit-def: $vgpr21
                                        ; implicit-def: $vgpr46
                                        ; implicit-def: $vgpr22
                                        ; implicit-def: $vgpr52
                                        ; implicit-def: $vgpr45
                                        ; implicit-def: $vgpr50
                                        ; implicit-def: $vgpr31
                                        ; implicit-def: $vgpr53
                                        ; implicit-def: $vgpr43
                                        ; implicit-def: $vgpr48
                                        ; implicit-def: $vgpr32
                                        ; implicit-def: $vgpr54
                                        ; implicit-def: $vgpr44
                                        ; implicit-def: $vgpr49
                                        ; implicit-def: $vgpr33
                                        ; implicit-def: $vgpr55
                                        ; implicit-def: $vgpr56
                                        ; implicit-def: $vgpr47
                                        ; implicit-def: $vgpr51
                                        ; implicit-def: $vgpr10
                                        ; implicit-def: $vgpr2
                                        ; implicit-def: $vgpr17
                                        ; implicit-def: $vgpr13
                                        ; implicit-def: $vgpr35
                                        ; implicit-def: $vgpr39
                                        ; implicit-def: $vgpr28
                                        ; implicit-def: $vgpr24
                                        ; implicit-def: $vgpr37
                                        ; implicit-def: $vgpr34
                                        ; implicit-def: $vgpr25
                                        ; implicit-def: $vgpr27
                                        ; implicit-def: $vgpr38
                                        ; implicit-def: $vgpr36
                                        ; implicit-def: $vgpr26
                                        ; implicit-def: $vgpr29
                                        ; implicit-def: $vgpr40
                                        ; implicit-def: $vgpr41
                                        ; implicit-def: $vgpr23
                                        ; implicit-def: $vgpr30
	s_wait_alu 0xfffe
	s_xor_b32 exec_lo, exec_lo, s1
	s_cbranch_execz .LBB0_13
; %bb.12:
	v_mul_u32_u24_e32 v1, 0xa0, v57
	s_add_nc_u64 s[10:11], s[12:13], s[10:11]
	v_lshlrev_b64_e32 v[13:14], 2, v[19:20]
	s_load_b64 s[10:11], s[10:11], 0x0
	s_delay_alu instid0(VALU_DEP_2) | instskip(NEXT) | instid1(VALU_DEP_1)
	v_sub_nc_u32_e32 v1, v0, v1
	v_mad_co_u64_u32 v[10:11], null, s18, v1, 0
	v_add_nc_u32_e32 v7, 0x140, v1
	v_or_b32_e32 v12, 0x500, v1
	v_add_nc_u32_e32 v30, 0x780, v1
	s_delay_alu instid0(VALU_DEP_4) | instskip(NEXT) | instid1(VALU_DEP_4)
	v_dual_mov_b32 v0, v11 :: v_dual_add_nc_u32 v31, 0x8c0, v1
	v_mad_co_u64_u32 v[15:16], null, s18, v7, 0
	v_add_nc_u32_e32 v9, 0x3c0, v1
	s_wait_kmcnt 0x0
	v_mul_lo_u32 v11, s11, v5
	v_mul_lo_u32 v24, s10, v6
	v_mad_co_u64_u32 v[19:20], null, s10, v5, 0
	v_mad_co_u64_u32 v[21:22], null, s19, v1, v[0:1]
	v_mov_b32_e32 v0, v16
	v_add_nc_u32_e32 v8, 0x280, v1
	v_mad_co_u64_u32 v[22:23], null, s18, v9, 0
	v_add3_u32 v20, v20, v24, v11
	s_delay_alu instid0(VALU_DEP_4) | instskip(SKIP_4) | instid1(VALU_DEP_4)
	v_mad_co_u64_u32 v[24:25], null, s19, v7, v[0:1]
	v_mov_b32_e32 v11, v21
	v_mad_co_u64_u32 v[17:18], null, s18, v8, 0
	v_mov_b32_e32 v0, v23
	v_mad_co_u64_u32 v[25:26], null, s18, v12, 0
	v_lshlrev_b64_e32 v[10:11], 2, v[10:11]
	v_mov_b32_e32 v16, v24
	v_add_nc_u32_e32 v24, 0x640, v1
	v_mov_b32_e32 v2, v18
	v_lshlrev_b64_e32 v[18:19], 2, v[19:20]
	s_delay_alu instid0(VALU_DEP_2) | instskip(NEXT) | instid1(VALU_DEP_2)
	v_mad_co_u64_u32 v[20:21], null, s19, v8, v[2:3]
	v_add_co_u32 v2, s0, s4, v18
	s_wait_alu 0xf1ff
	s_delay_alu instid0(VALU_DEP_3) | instskip(NEXT) | instid1(VALU_DEP_2)
	v_add_co_ci_u32_e64 v19, s0, s5, v19, s0
	v_add_co_u32 v2, s0, v2, v13
	s_wait_alu 0xf1ff
	s_delay_alu instid0(VALU_DEP_2) | instskip(SKIP_1) | instid1(VALU_DEP_3)
	v_add_co_ci_u32_e64 v56, s0, v19, v14, s0
	v_lshlrev_b64_e32 v[13:14], 2, v[15:16]
	v_add_co_u32 v15, s0, v2, v10
	s_wait_alu 0xf1ff
	s_delay_alu instid0(VALU_DEP_3)
	v_add_co_ci_u32_e64 v16, s0, v56, v11, s0
	v_mad_co_u64_u32 v[10:11], null, s19, v9, v[0:1]
	v_mov_b32_e32 v0, v26
	v_mov_b32_e32 v18, v20
	v_add_co_u32 v13, s0, v2, v13
	s_wait_alu 0xf1ff
	v_add_co_ci_u32_e64 v14, s0, v56, v14, s0
	v_mov_b32_e32 v23, v10
	v_mad_co_u64_u32 v[10:11], null, s18, v24, 0
	v_mad_co_u64_u32 v[19:20], null, s19, v12, v[0:1]
	s_delay_alu instid0(VALU_DEP_3) | instskip(SKIP_1) | instid1(VALU_DEP_4)
	v_lshlrev_b64_e32 v[20:21], 2, v[22:23]
	v_mad_co_u64_u32 v[22:23], null, s18, v30, 0
	v_mov_b32_e32 v0, v11
	s_delay_alu instid0(VALU_DEP_4) | instskip(NEXT) | instid1(VALU_DEP_2)
	v_mov_b32_e32 v26, v19
	v_mad_co_u64_u32 v[27:28], null, s19, v24, v[0:1]
	s_delay_alu instid0(VALU_DEP_4) | instskip(NEXT) | instid1(VALU_DEP_3)
	v_mov_b32_e32 v0, v23
	v_lshlrev_b64_e32 v[24:25], 2, v[25:26]
	v_mad_co_u64_u32 v[28:29], null, s18, v31, 0
	s_delay_alu instid0(VALU_DEP_4) | instskip(NEXT) | instid1(VALU_DEP_4)
	v_mov_b32_e32 v11, v27
	v_mad_co_u64_u32 v[26:27], null, s19, v30, v[0:1]
	v_or_b32_e32 v30, 0xa00, v1
	s_delay_alu instid0(VALU_DEP_4) | instskip(NEXT) | instid1(VALU_DEP_4)
	v_mov_b32_e32 v0, v29
	v_lshlrev_b64_e32 v[10:11], 2, v[10:11]
	s_delay_alu instid0(VALU_DEP_3) | instskip(SKIP_3) | instid1(VALU_DEP_4)
	v_mad_co_u64_u32 v[34:35], null, s18, v30, 0
	v_mov_b32_e32 v23, v26
	v_lshlrev_b64_e32 v[17:18], 2, v[17:18]
	v_mad_co_u64_u32 v[26:27], null, s19, v31, v[0:1]
	v_dual_mov_b32 v0, v35 :: v_dual_add_nc_u32 v31, 0xb40, v1
	s_delay_alu instid0(VALU_DEP_3) | instskip(SKIP_1) | instid1(VALU_DEP_4)
	v_add_co_u32 v17, s0, v2, v17
	s_wait_alu 0xf1ff
	v_add_co_ci_u32_e64 v18, s0, v56, v18, s0
	v_add_co_u32 v19, s0, v2, v20
	s_wait_alu 0xf1ff
	v_add_co_ci_u32_e64 v20, s0, v56, v21, s0
	;; [unrolled: 3-line block ×4, first 2 shown]
	v_mov_b32_e32 v29, v26
	v_lshlrev_b64_e32 v[10:11], 2, v[22:23]
	v_mad_co_u64_u32 v[26:27], null, s18, v31, 0
	s_delay_alu instid0(VALU_DEP_3) | instskip(SKIP_1) | instid1(VALU_DEP_4)
	v_lshlrev_b64_e32 v[21:22], 2, v[28:29]
	v_mad_co_u64_u32 v[28:29], null, s19, v30, v[0:1]
	v_add_co_u32 v29, s0, v2, v10
	s_wait_alu 0xf1ff
	v_add_co_ci_u32_e64 v30, s0, v56, v11, s0
	v_dual_mov_b32 v0, v27 :: v_dual_add_nc_u32 v11, 0xa0, v1
	s_delay_alu instid0(VALU_DEP_4) | instskip(SKIP_1) | instid1(VALU_DEP_3)
	v_mov_b32_e32 v35, v28
	v_add_co_u32 v36, s0, v2, v21
	v_mad_co_u64_u32 v[38:39], null, s18, v11, 0
	s_wait_alu 0xf1ff
	v_add_co_ci_u32_e64 v37, s0, v56, v22, s0
	v_mad_co_u64_u32 v[27:28], null, s19, v31, v[0:1]
	s_clause 0x7
	global_load_b32 v21, v[15:16], off
	global_load_b32 v22, v[13:14], off
	global_load_b32 v45, v[17:18], off
	global_load_b32 v31, v[19:20], off
	global_load_b32 v43, v[24:25], off
	global_load_b32 v32, v[32:33], off
	global_load_b32 v44, v[29:30], off
	global_load_b32 v33, v[36:37], off
	v_add_nc_u32_e32 v14, 0x1e0, v1
	v_lshlrev_b64_e32 v[15:16], 2, v[34:35]
	v_mov_b32_e32 v0, v39
	v_add_nc_u32_e32 v10, 0x6e0, v1
	v_add_nc_u32_e32 v13, 0x820, v1
	v_mad_co_u64_u32 v[19:20], null, s18, v14, 0
	v_add_co_u32 v23, s0, v2, v15
	v_add_nc_u32_e32 v15, 0x320, v1
	v_mad_co_u64_u32 v[17:18], null, s19, v11, v[0:1]
	v_lshlrev_b64_e32 v[25:26], 2, v[26:27]
	v_mov_b32_e32 v0, v20
	s_delay_alu instid0(VALU_DEP_4)
	v_mad_co_u64_u32 v[27:28], null, s18, v15, 0
	s_wait_alu 0xf1ff
	v_add_co_ci_u32_e64 v24, s0, v56, v16, s0
	v_mov_b32_e32 v39, v17
	v_mad_co_u64_u32 v[17:18], null, s19, v14, v[0:1]
	v_add_nc_u32_e32 v16, 0x460, v1
	v_mov_b32_e32 v0, v28
	s_delay_alu instid0(VALU_DEP_4) | instskip(SKIP_1) | instid1(VALU_DEP_4)
	v_lshlrev_b64_e32 v[29:30], 2, v[38:39]
	v_mad_co_u64_u32 v[40:41], null, s18, v13, 0
	v_mad_co_u64_u32 v[34:35], null, s18, v16, 0
	v_mov_b32_e32 v20, v17
	v_mad_co_u64_u32 v[17:18], null, s19, v15, v[0:1]
	v_add_nc_u32_e32 v18, 0x5a0, v1
	v_add_co_u32 v25, s0, v2, v25
	v_mov_b32_e32 v0, v35
	v_lshlrev_b64_e32 v[19:20], 2, v[19:20]
	s_delay_alu instid0(VALU_DEP_4) | instskip(SKIP_1) | instid1(VALU_DEP_4)
	v_mad_co_u64_u32 v[36:37], null, s18, v18, 0
	v_mov_b32_e32 v28, v17
	v_mad_co_u64_u32 v[38:39], null, s19, v16, v[0:1]
	v_add_nc_u32_e32 v17, 0x960, v1
	s_wait_alu 0xf1ff
	v_add_co_ci_u32_e64 v26, s0, v56, v26, s0
	v_mov_b32_e32 v0, v37
	v_add_co_u32 v29, s0, v2, v29
	v_mov_b32_e32 v35, v38
	v_lshlrev_b64_e32 v[27:28], 2, v[27:28]
	s_delay_alu instid0(VALU_DEP_4)
	v_mad_co_u64_u32 v[37:38], null, s19, v18, v[0:1]
	v_mad_co_u64_u32 v[38:39], null, s18, v10, 0
	s_wait_alu 0xf1ff
	v_add_co_ci_u32_e64 v30, s0, v56, v30, s0
	v_add_co_u32 v19, s0, v2, v19
	v_lshlrev_b64_e32 v[34:35], 2, v[34:35]
	s_wait_alu 0xf1ff
	v_add_co_ci_u32_e64 v20, s0, v56, v20, s0
	v_mov_b32_e32 v0, v39
	v_add_co_u32 v27, s0, v2, v27
	v_lshlrev_b64_e32 v[36:37], 2, v[36:37]
	s_wait_alu 0xf1ff
	v_add_co_ci_u32_e64 v28, s0, v56, v28, s0
	v_mad_co_u64_u32 v[46:47], null, s19, v10, v[0:1]
	v_mad_co_u64_u32 v[47:48], null, s18, v17, 0
	v_mov_b32_e32 v0, v41
	v_add_nc_u32_e32 v10, 0xaa0, v1
	v_add_co_u32 v34, s0, v2, v34
	v_mov_b32_e32 v39, v46
	s_delay_alu instid0(VALU_DEP_4) | instskip(SKIP_2) | instid1(VALU_DEP_4)
	v_mad_co_u64_u32 v[41:42], null, s19, v13, v[0:1]
	v_dual_mov_b32 v0, v48 :: v_dual_add_nc_u32 v13, 0xbe0, v1
	v_mad_co_u64_u32 v[49:50], null, s18, v10, 0
	v_lshlrev_b64_e32 v[38:39], 2, v[38:39]
	s_delay_alu instid0(VALU_DEP_3) | instskip(NEXT) | instid1(VALU_DEP_4)
	v_mad_co_u64_u32 v[51:52], null, s19, v17, v[0:1]
	v_mad_co_u64_u32 v[52:53], null, s18, v13, 0
	s_wait_alu 0xf1ff
	v_add_co_ci_u32_e64 v35, s0, v56, v35, s0
	v_mov_b32_e32 v0, v50
	v_add_co_u32 v36, s0, v2, v36
	v_mov_b32_e32 v48, v51
	s_wait_alu 0xf1ff
	v_add_co_ci_u32_e64 v37, s0, v56, v37, s0
	v_mad_co_u64_u32 v[50:51], null, s19, v10, v[0:1]
	v_mov_b32_e32 v0, v53
	v_add_co_u32 v54, s0, v2, v38
	s_wait_alu 0xf1ff
	v_add_co_ci_u32_e64 v55, s0, v56, v39, s0
	v_lshlrev_b64_e32 v[38:39], 2, v[40:41]
	v_mad_co_u64_u32 v[40:41], null, s19, v13, v[0:1]
	v_lshlrev_b64_e32 v[41:42], 2, v[47:48]
	s_delay_alu instid0(VALU_DEP_3) | instskip(SKIP_1) | instid1(VALU_DEP_4)
	v_add_co_u32 v46, s0, v2, v38
	s_wait_alu 0xf1ff
	v_add_co_ci_u32_e64 v47, s0, v56, v39, s0
	s_delay_alu instid0(VALU_DEP_4)
	v_mov_b32_e32 v53, v40
	v_lshlrev_b64_e32 v[38:39], 2, v[49:50]
	v_add_co_u32 v40, s0, v2, v41
	s_wait_alu 0xf1ff
	v_add_co_ci_u32_e64 v41, s0, v56, v42, s0
	v_lshlrev_b64_e32 v[48:49], 2, v[52:53]
	s_delay_alu instid0(VALU_DEP_4) | instskip(SKIP_2) | instid1(VALU_DEP_3)
	v_add_co_u32 v52, s0, v2, v38
	s_wait_alu 0xf1ff
	v_add_co_ci_u32_e64 v53, s0, v56, v39, s0
	v_add_co_u32 v48, s0, v2, v48
	s_wait_alu 0xf1ff
	v_add_co_ci_u32_e64 v49, s0, v56, v49, s0
	s_clause 0xb
	global_load_b32 v56, v[23:24], off
	global_load_b32 v51, v[25:26], off
	;; [unrolled: 1-line block ×12, first 2 shown]
	s_wait_loadcnt 0x13
	v_lshrrev_b32_e32 v42, 16, v21
	s_wait_loadcnt 0x12
	v_lshrrev_b32_e32 v46, 16, v22
	;; [unrolled: 2-line block ×20, first 2 shown]
.LBB0_13:
	s_or_b32 exec_lo, exec_lo, s1
	v_add_f16_e32 v0, v43, v44
	v_sub_f16_e32 v20, v52, v55
	v_add_f16_e32 v60, v45, v56
	v_add_f16_e32 v19, v21, v45
	v_sub_f16_e32 v57, v53, v54
	v_fma_f16 v0, -0.5, v0, v21
	v_add_f16_e32 v63, v42, v52
	v_fmac_f16_e32 v21, -0.5, v60
	v_sub_f16_e32 v58, v45, v43
	v_sub_f16_e32 v59, v56, v44
	v_fmamk_f16 v61, v20, 0xbb9c, v0
	v_fmac_f16_e32 v0, 0x3b9c, v20
	v_fmamk_f16 v60, v57, 0x3b9c, v21
	v_fmac_f16_e32 v21, 0xbb9c, v57
	v_add_f16_e32 v19, v19, v43
	v_fmac_f16_e32 v61, 0xb8b4, v57
	v_fmac_f16_e32 v0, 0x38b4, v57
	v_add_f16_e32 v57, v63, v53
	v_sub_f16_e32 v62, v43, v45
	v_add_f16_e32 v58, v58, v59
	v_sub_f16_e32 v59, v44, v56
	v_add_f16_e32 v64, v53, v54
	v_fmac_f16_e32 v60, 0xb8b4, v20
	v_fmac_f16_e32 v21, 0x38b4, v20
	v_add_f16_e32 v20, v57, v54
	v_add_f16_e32 v57, v52, v55
	;; [unrolled: 1-line block ×4, first 2 shown]
	v_fma_f16 v62, -0.5, v64, v42
	v_sub_f16_e32 v45, v45, v56
	v_sub_f16_e32 v43, v43, v44
	v_fmac_f16_e32 v42, -0.5, v57
	v_add_f16_e32 v19, v19, v56
	v_fmac_f16_e32 v61, 0x34f2, v58
	v_fmac_f16_e32 v0, 0x34f2, v58
	v_fmamk_f16 v56, v45, 0x3b9c, v62
	v_sub_f16_e32 v44, v52, v53
	v_sub_f16_e32 v58, v55, v54
	v_fmac_f16_e32 v62, 0xbb9c, v45
	v_fmamk_f16 v57, v43, 0xbb9c, v42
	v_sub_f16_e32 v52, v53, v52
	v_sub_f16_e32 v53, v54, v55
	v_fmac_f16_e32 v42, 0x3b9c, v43
	v_fmac_f16_e32 v56, 0x38b4, v43
	v_add_f16_e32 v44, v44, v58
	v_fmac_f16_e32 v62, 0xb8b4, v43
	v_fmac_f16_e32 v57, 0x38b4, v45
	v_add_f16_e32 v52, v52, v53
	v_add_f16_e32 v53, v32, v33
	v_fmac_f16_e32 v42, 0xb8b4, v45
	v_add_f16_e32 v45, v31, v51
	v_fmac_f16_e32 v56, 0x34f2, v44
	;; [unrolled: 2-line block ×3, first 2 shown]
	v_fmac_f16_e32 v57, 0x34f2, v52
	v_fma_f16 v44, -0.5, v53, v22
	v_sub_f16_e32 v53, v50, v47
	v_fmac_f16_e32 v42, 0x34f2, v52
	v_sub_f16_e32 v52, v48, v49
	v_fmac_f16_e32 v22, -0.5, v45
	v_add_f16_e32 v43, v54, v32
	v_fmamk_f16 v45, v53, 0xbb9c, v44
	v_fmac_f16_e32 v44, 0x3b9c, v53
	v_fmac_f16_e32 v60, 0x34f2, v59
	v_fmamk_f16 v58, v52, 0x3b9c, v22
	v_fmac_f16_e32 v22, 0xbb9c, v52
	v_fmac_f16_e32 v21, 0x34f2, v59
	v_add_f16_e32 v20, v20, v55
	v_add_f16_e32 v43, v43, v33
	v_sub_f16_e32 v54, v31, v32
	v_sub_f16_e32 v55, v51, v33
	;; [unrolled: 1-line block ×4, first 2 shown]
	v_fmac_f16_e32 v45, 0xb8b4, v52
	v_fmac_f16_e32 v44, 0x38b4, v52
	;; [unrolled: 1-line block ×3, first 2 shown]
	v_add_f16_e32 v52, v48, v49
	v_fmac_f16_e32 v22, 0x38b4, v53
	v_add_f16_e32 v53, v50, v47
	v_add_f16_e32 v43, v43, v51
	;; [unrolled: 1-line block ×4, first 2 shown]
	v_fma_f16 v52, -0.5, v52, v46
	v_sub_f16_e32 v31, v31, v51
	v_add_f16_e32 v51, v46, v50
	v_sub_f16_e32 v32, v32, v33
	v_fmac_f16_e32 v46, -0.5, v53
	v_fmac_f16_e32 v45, 0x34f2, v54
	v_fmac_f16_e32 v44, 0x34f2, v54
	;; [unrolled: 1-line block ×4, first 2 shown]
	v_fmamk_f16 v33, v31, 0x3b9c, v52
	v_sub_f16_e32 v53, v50, v48
	v_sub_f16_e32 v54, v47, v49
	v_fmamk_f16 v55, v32, 0xbb9c, v46
	v_sub_f16_e32 v50, v48, v50
	v_sub_f16_e32 v59, v49, v47
	v_fmac_f16_e32 v46, 0x3b9c, v32
	v_fmac_f16_e32 v52, 0xbb9c, v31
	;; [unrolled: 1-line block ×3, first 2 shown]
	v_add_f16_e32 v53, v53, v54
	v_fmac_f16_e32 v55, 0x38b4, v31
	v_add_f16_e32 v50, v50, v59
	v_fmac_f16_e32 v46, 0xb8b4, v31
	;; [unrolled: 2-line block ×3, first 2 shown]
	v_fmac_f16_e32 v33, 0x34f2, v53
	v_fmac_f16_e32 v55, 0x34f2, v50
	;; [unrolled: 1-line block ×3, first 2 shown]
	v_add_f16_e32 v31, v31, v49
	v_fmac_f16_e32 v52, 0x34f2, v53
	v_mul_f16_e32 v32, 0xb8b4, v33
	v_mul_f16_e32 v48, 0xbb9c, v55
	;; [unrolled: 1-line block ×3, first 2 shown]
	v_add_f16_e32 v31, v31, v47
	v_mul_f16_e32 v47, 0xb8b4, v52
	v_fmac_f16_e32 v32, 0x3a79, v45
	v_fmac_f16_e32 v48, 0x34f2, v58
	v_mul_f16_e32 v33, 0x3a79, v33
	v_mul_f16_e32 v58, 0x3b9c, v58
	v_fmac_f16_e32 v47, 0xba79, v44
	v_mul_f16_e32 v46, 0xb4f2, v46
	v_fmac_f16_e32 v49, 0xb4f2, v22
	v_add_f16_e32 v50, v19, v43
	v_add_f16_e32 v51, v61, v32
	v_add_f16_e32 v53, v60, v48
	v_mul_f16_e32 v52, 0xba79, v52
	v_add_f16_e32 v59, v0, v47
	v_fmac_f16_e32 v33, 0x38b4, v45
	v_fmac_f16_e32 v58, 0x34f2, v55
	;; [unrolled: 1-line block ×3, first 2 shown]
	v_sub_f16_e32 v19, v19, v43
	v_sub_f16_e32 v22, v61, v32
	v_add_f16_e32 v32, v34, v36
	v_sub_f16_e32 v43, v60, v48
	v_sub_f16_e32 v0, v0, v47
	v_add_f16_e32 v47, v2, v39
	v_add_f16_e32 v60, v39, v41
	v_fmac_f16_e32 v52, 0x38b4, v44
	v_add_f16_e32 v44, v20, v31
	v_add_f16_e32 v45, v56, v33
	;; [unrolled: 1-line block ×3, first 2 shown]
	v_fma_f16 v32, -0.5, v32, v2
	v_sub_f16_e32 v48, v35, v40
	v_sub_f16_e32 v20, v20, v31
	;; [unrolled: 1-line block ×4, first 2 shown]
	v_add_f16_e32 v47, v47, v34
	v_sub_f16_e32 v56, v37, v38
	v_sub_f16_e32 v57, v39, v34
	;; [unrolled: 1-line block ×3, first 2 shown]
	v_fmac_f16_e32 v2, -0.5, v60
	v_add_f16_e32 v54, v21, v49
	v_add_f16_e32 v63, v42, v46
	;; [unrolled: 1-line block ×3, first 2 shown]
	v_sub_f16_e32 v21, v21, v49
	v_fmamk_f16 v49, v48, 0xbb9c, v32
	v_sub_f16_e32 v42, v42, v46
	v_add_f16_e32 v46, v47, v36
	v_add_f16_e32 v47, v57, v58
	v_sub_f16_e32 v52, v62, v52
	v_fmac_f16_e32 v32, 0x3b9c, v48
	v_fmamk_f16 v57, v56, 0x3b9c, v2
	v_sub_f16_e32 v58, v34, v39
	v_sub_f16_e32 v60, v36, v41
	v_add_f16_e32 v61, v10, v35
	v_add_f16_e32 v62, v37, v38
	v_fmac_f16_e32 v2, 0xbb9c, v56
	v_fmac_f16_e32 v49, 0xb8b4, v56
	;; [unrolled: 1-line block ×4, first 2 shown]
	v_add_f16_e32 v58, v58, v60
	v_add_f16_e32 v56, v61, v37
	v_fma_f16 v60, -0.5, v62, v10
	v_sub_f16_e32 v39, v39, v41
	v_fmac_f16_e32 v2, 0x38b4, v48
	v_add_f16_e32 v48, v35, v40
	v_add_f16_e32 v46, v46, v41
	v_fmac_f16_e32 v49, 0x34f2, v47
	v_fmac_f16_e32 v32, 0x34f2, v47
	v_add_f16_e32 v41, v56, v38
	v_fmamk_f16 v47, v39, 0x3b9c, v60
	v_sub_f16_e32 v34, v34, v36
	v_sub_f16_e32 v36, v35, v37
	;; [unrolled: 1-line block ×3, first 2 shown]
	v_fmac_f16_e32 v10, -0.5, v48
	v_fmac_f16_e32 v60, 0xbb9c, v39
	v_sub_f16_e32 v35, v37, v35
	v_sub_f16_e32 v37, v38, v40
	v_fmac_f16_e32 v47, 0x38b4, v34
	v_add_f16_e32 v36, v36, v56
	v_fmamk_f16 v48, v34, 0xbb9c, v10
	v_fmac_f16_e32 v60, 0xb8b4, v34
	v_add_f16_e32 v35, v35, v37
	v_fmac_f16_e32 v10, 0x3b9c, v34
	v_add_f16_e32 v37, v27, v29
	;; [unrolled: 2-line block ×3, first 2 shown]
	v_fmac_f16_e32 v48, 0x38b4, v39
	v_fmac_f16_e32 v60, 0x34f2, v36
	;; [unrolled: 1-line block ×3, first 2 shown]
	v_fma_f16 v36, -0.5, v37, v13
	v_add_f16_e32 v37, v24, v30
	v_add_f16_e32 v34, v38, v27
	v_fmac_f16_e32 v48, 0x34f2, v35
	v_sub_f16_e32 v38, v28, v23
	v_fmac_f16_e32 v10, 0x34f2, v35
	v_sub_f16_e32 v35, v25, v26
	v_fmac_f16_e32 v13, -0.5, v37
	v_fmac_f16_e32 v57, 0x34f2, v58
	v_fmamk_f16 v37, v38, 0xbb9c, v36
	v_fmac_f16_e32 v36, 0x3b9c, v38
	v_fmac_f16_e32 v2, 0x34f2, v58
	v_fmamk_f16 v56, v35, 0x3b9c, v13
	v_fmac_f16_e32 v13, 0xbb9c, v35
	v_add_f16_e32 v41, v41, v40
	v_add_f16_e32 v34, v34, v29
	v_sub_f16_e32 v39, v24, v27
	v_sub_f16_e32 v40, v30, v29
	;; [unrolled: 1-line block ×4, first 2 shown]
	v_fmac_f16_e32 v37, 0xb8b4, v35
	v_fmac_f16_e32 v36, 0x38b4, v35
	;; [unrolled: 1-line block ×3, first 2 shown]
	v_add_f16_e32 v35, v25, v26
	v_fmac_f16_e32 v13, 0x38b4, v38
	v_add_f16_e32 v38, v28, v23
	v_add_f16_e32 v34, v34, v30
	;; [unrolled: 1-line block ×4, first 2 shown]
	v_fma_f16 v35, -0.5, v35, v17
	v_sub_f16_e32 v24, v24, v30
	v_add_f16_e32 v30, v17, v28
	v_sub_f16_e32 v27, v27, v29
	v_fmac_f16_e32 v17, -0.5, v38
	v_fmac_f16_e32 v37, 0x34f2, v39
	v_fmac_f16_e32 v36, 0x34f2, v39
	;; [unrolled: 1-line block ×4, first 2 shown]
	v_fmamk_f16 v29, v24, 0x3b9c, v35
	v_sub_f16_e32 v38, v28, v25
	v_sub_f16_e32 v39, v23, v26
	v_fmamk_f16 v40, v27, 0xbb9c, v17
	v_fmac_f16_e32 v17, 0x3b9c, v27
	v_fmac_f16_e32 v35, 0xbb9c, v24
	v_sub_f16_e32 v28, v25, v28
	v_sub_f16_e32 v58, v26, v23
	v_add_f16_e32 v38, v38, v39
	v_fmac_f16_e32 v40, 0x38b4, v24
	v_fmac_f16_e32 v17, 0xb8b4, v24
	v_add_f16_e32 v24, v30, v25
	v_fmac_f16_e32 v35, 0xb8b4, v27
	v_fmac_f16_e32 v29, 0x38b4, v27
	v_add_f16_e32 v28, v28, v58
	v_pack_b32_f16 v22, v22, v43
	v_add_f16_e32 v24, v24, v26
	v_fmac_f16_e32 v35, 0x34f2, v38
	v_fmac_f16_e32 v29, 0x34f2, v38
	;; [unrolled: 1-line block ×4, first 2 shown]
	v_add_f16_e32 v23, v24, v23
	v_mul_f16_e32 v24, 0xb8b4, v35
	v_mul_f16_e32 v25, 0xb8b4, v29
	;; [unrolled: 1-line block ×5, first 2 shown]
	v_fmac_f16_e32 v24, 0xba79, v36
	v_mul_f16_e32 v35, 0xba79, v35
	v_fmac_f16_e32 v25, 0x3a79, v37
	v_fmac_f16_e32 v26, 0x34f2, v56
	;; [unrolled: 1-line block ×4, first 2 shown]
	v_add_f16_e32 v58, v32, v24
	v_fmac_f16_e32 v35, 0x38b4, v36
	v_add_f16_e32 v36, v41, v23
	v_sub_f16_e32 v24, v32, v24
	v_sub_f16_e32 v32, v41, v23
	v_mul_u32_u24_e32 v23, 10, v1
	v_add_f16_e32 v28, v46, v34
	v_add_f16_e32 v30, v49, v25
	;; [unrolled: 1-line block ×5, first 2 shown]
	v_sub_f16_e32 v41, v10, v17
	v_mul_i32_i24_e32 v17, 10, v11
	v_sub_f16_e32 v13, v46, v34
	v_sub_f16_e32 v25, v49, v25
	;; [unrolled: 1-line block ×4, first 2 shown]
	v_lshl_add_u32 v46, v23, 1, 0
	v_pack_b32_f16 v10, v53, v54
	v_pack_b32_f16 v23, v50, v51
	;; [unrolled: 1-line block ×4, first 2 shown]
	v_lshl_add_u32 v21, v17, 1, 0
	v_pack_b32_f16 v17, v38, v39
	v_pack_b32_f16 v27, v28, v30
	;; [unrolled: 1-line block ×4, first 2 shown]
	s_load_b64 s[2:3], s[2:3], 0x0
	v_pack_b32_f16 v2, v2, v24
	ds_store_2addr_b32 v46, v23, v10 offset1:1
	ds_store_2addr_b32 v46, v19, v22 offset0:2 offset1:3
	ds_store_b32 v46, v0 offset:16
	ds_store_2addr_b32 v21, v27, v17 offset1:1
	ds_store_2addr_b32 v21, v13, v25 offset0:2 offset1:3
	ds_store_b32 v21, v2 offset:16
	v_and_b32_e32 v13, 0xff, v1
	v_mul_f16_e32 v29, 0x3a79, v29
	v_mul_f16_e32 v56, 0x3b9c, v56
	v_add_f16_e32 v62, v60, v35
	v_sub_f16_e32 v35, v60, v35
	v_mul_lo_u16 v13, 0xcd, v13
	v_fmac_f16_e32 v29, 0x38b4, v37
	v_fmac_f16_e32 v56, 0x34f2, v40
	v_mad_i32_i24 v0, 0xffffffee, v1, v46
	v_lshl_add_u32 v22, v8, 1, 0
	v_lshrrev_b16 v13, 11, v13
	v_add_f16_e32 v37, v47, v29
	v_sub_f16_e32 v29, v47, v29
	v_sub_f16_e32 v34, v48, v56
	v_add_f16_e32 v40, v48, v56
	v_mul_lo_u16 v17, v13, 10
	v_pack_b32_f16 v19, v55, v63
	v_pack_b32_f16 v26, v44, v45
	;; [unrolled: 1-line block ×4, first 2 shown]
	v_sub_nc_u16 v17, v1, v17
	v_lshl_add_u32 v23, v9, 1, 0
	v_pack_b32_f16 v28, v31, v33
	v_pack_b32_f16 v20, v64, v20
	v_lshl_add_u32 v24, v12, 1, 0
	v_and_b32_e32 v17, 0xff, v17
	v_lshl_add_u32 v25, v7, 1, 0
	v_pack_b32_f16 v30, v42, v52
	v_mad_i32_i24 v2, 0xffffffee, v11, v21
	v_pack_b32_f16 v31, v40, v61
	v_mul_u32_u24_e32 v35, 9, v17
	v_pack_b32_f16 v33, v36, v37
	v_pack_b32_f16 v32, v62, v32
	global_wb scope:SCOPE_SE
	s_wait_dscnt 0x0
	s_wait_kmcnt 0x0
	s_barrier_signal -1
	s_barrier_wait -1
	global_inv scope:SCOPE_SE
	ds_load_u16 v47, v22
	ds_load_u16 v48, v23
	;; [unrolled: 1-line block ×5, first 2 shown]
	ds_load_u16 v50, v0 offset:960
	ds_load_u16 v51, v0 offset:1600
	;; [unrolled: 1-line block ×7, first 2 shown]
	ds_load_u16 v59, v25
	ds_load_u16 v60, v0 offset:6080
	ds_load_u16 v65, v0 offset:5760
	;; [unrolled: 1-line block ×7, first 2 shown]
	global_wb scope:SCOPE_SE
	s_wait_dscnt 0x0
	s_barrier_signal -1
	s_barrier_wait -1
	global_inv scope:SCOPE_SE
	ds_store_2addr_b32 v46, v26, v19 offset1:1
	ds_store_2addr_b32 v46, v20, v28 offset0:2 offset1:3
	ds_store_b32 v46, v30 offset:16
	ds_store_2addr_b32 v21, v33, v31 offset1:1
	ds_store_2addr_b32 v21, v32, v29 offset0:2 offset1:3
	ds_store_b32 v21, v34 offset:16
	v_lshlrev_b32_e32 v26, 2, v35
	v_and_b32_e32 v19, 0xffff, v11
	global_wb scope:SCOPE_SE
	s_wait_dscnt 0x0
	s_barrier_signal -1
	s_barrier_wait -1
	global_inv scope:SCOPE_SE
	s_clause 0x1
	global_load_b128 v[28:31], v26, s[8:9]
	global_load_b128 v[32:35], v26, s[8:9] offset:16
	v_mul_u32_u24_e32 v19, 0xcccd, v19
	global_load_b32 v44, v26, s[8:9] offset:32
	v_and_b32_e32 v13, 0xffff, v13
	v_lshlrev_b32_e32 v17, 1, v17
	v_cmp_gt_u32_e64 s0, 0x64, v1
	v_lshrrev_b32_e32 v19, 19, v19
	s_delay_alu instid0(VALU_DEP_4) | instskip(NEXT) | instid1(VALU_DEP_2)
	v_mul_u32_u24_e32 v13, 0xc8, v13
	v_mul_lo_u16 v20, v19, 10
	v_mul_u32_u24_e32 v19, 0xc8, v19
	s_delay_alu instid0(VALU_DEP_3) | instskip(NEXT) | instid1(VALU_DEP_3)
	v_add3_u32 v13, 0, v13, v17
	v_sub_nc_u16 v20, v11, v20
	s_delay_alu instid0(VALU_DEP_1) | instskip(NEXT) | instid1(VALU_DEP_1)
	v_and_b32_e32 v20, 0xffff, v20
	v_mul_u32_u24_e32 v36, 9, v20
	v_lshlrev_b32_e32 v20, 1, v20
	s_delay_alu instid0(VALU_DEP_2)
	v_lshlrev_b32_e32 v26, 2, v36
	s_clause 0x2
	global_load_b128 v[36:39], v26, s[8:9]
	global_load_b128 v[40:43], v26, s[8:9] offset:16
	global_load_b32 v45, v26, s[8:9] offset:32
	ds_load_u16 v46, v25
	ds_load_u16 v52, v22
	;; [unrolled: 1-line block ×6, first 2 shown]
	ds_load_u16 v63, v0 offset:960
	ds_load_u16 v64, v0 offset:1600
	;; [unrolled: 1-line block ×12, first 2 shown]
	v_add3_u32 v17, 0, v19, v20
	v_dual_mov_b32 v20, 0 :: v_dual_add_nc_u32 v19, 0xffffff9c, v1
	s_wait_loadcnt 0x5
	v_lshrrev_b32_e32 v76, 16, v28
	v_lshrrev_b32_e32 v80, 16, v29
	;; [unrolled: 1-line block ×4, first 2 shown]
	s_wait_dscnt 0x11
	v_mul_f16_e32 v81, v46, v76
	v_mul_f16_e32 v76, v59, v76
	s_delay_alu instid0(VALU_DEP_2)
	v_fmac_f16_e32 v81, v59, v28
	s_wait_dscnt 0x10
	v_mul_f16_e32 v59, v52, v80
	v_mul_f16_e32 v80, v47, v80
	v_fma_f16 v46, v46, v28, -v76
	ds_load_u16 v28, v0 offset:4480
	s_wait_dscnt 0x10
	v_mul_f16_e32 v76, v55, v84
	v_fmac_f16_e32 v59, v47, v29
	v_fma_f16 v47, v52, v29, -v80
	ds_load_u16 v52, v0 offset:4160
	v_mul_f16_e32 v29, v48, v84
	v_fmac_f16_e32 v76, v48, v30
	s_wait_dscnt 0x10
	v_mul_f16_e32 v48, v61, v85
	v_mul_f16_e32 v80, v49, v85
	s_wait_loadcnt 0x4
	v_lshrrev_b32_e32 v84, 16, v35
	v_fma_f16 v55, v55, v30, -v29
	v_lshrrev_b32_e32 v29, 16, v32
	v_lshrrev_b32_e32 v30, 16, v33
	v_fmac_f16_e32 v48, v49, v31
	v_fma_f16 v49, v61, v31, -v80
	v_lshrrev_b32_e32 v31, 16, v34
	s_wait_dscnt 0x8
	v_mul_f16_e32 v61, v74, v29
	v_mul_f16_e32 v29, v57, v29
	;; [unrolled: 1-line block ×4, first 2 shown]
	global_wb scope:SCOPE_SE
	s_wait_loadcnt_dscnt 0x0
	v_fmac_f16_e32 v61, v57, v32
	v_fma_f16 v57, v74, v32, -v29
	v_fmac_f16_e32 v80, v54, v33
	v_mul_f16_e32 v54, v28, v31
	v_fma_f16 v72, v72, v33, -v30
	v_mul_f16_e32 v29, v69, v31
	v_lshrrev_b32_e32 v30, 16, v44
	v_mul_f16_e32 v74, v82, v84
	v_fmac_f16_e32 v54, v69, v34
	v_mul_f16_e32 v31, v67, v84
	v_fma_f16 v69, v28, v34, -v29
	v_mul_f16_e32 v84, v78, v30
	v_mul_f16_e32 v28, v65, v30
	v_lshrrev_b32_e32 v29, 16, v36
	v_lshrrev_b32_e32 v30, 16, v37
	v_fmac_f16_e32 v74, v67, v35
	v_fma_f16 v35, v82, v35, -v31
	v_fmac_f16_e32 v84, v65, v44
	v_fma_f16 v44, v78, v44, -v28
	v_lshrrev_b32_e32 v31, 16, v38
	v_mul_f16_e32 v28, v63, v29
	v_mul_f16_e32 v29, v50, v29
	;; [unrolled: 1-line block ×4, first 2 shown]
	v_lshrrev_b32_e32 v32, 16, v39
	v_fmac_f16_e32 v28, v50, v36
	v_fma_f16 v29, v63, v36, -v29
	v_mul_f16_e32 v33, v71, v31
	v_fma_f16 v36, v64, v37, -v30
	v_mul_f16_e32 v30, v53, v31
	v_mul_f16_e32 v31, v58, v32
	v_lshrrev_b32_e32 v50, 16, v40
	v_fmac_f16_e32 v65, v51, v37
	v_mul_f16_e32 v37, v75, v32
	v_fmac_f16_e32 v33, v53, v38
	v_fma_f16 v32, v71, v38, -v30
	v_fma_f16 v38, v75, v39, -v31
	v_mul_f16_e32 v34, v73, v50
	v_lshrrev_b32_e32 v31, 16, v42
	v_lshrrev_b32_e32 v30, 16, v41
	v_mul_f16_e32 v50, v56, v50
	v_fmac_f16_e32 v37, v58, v39
	v_fmac_f16_e32 v34, v56, v40
	v_mul_f16_e32 v56, v83, v31
	v_mul_f16_e32 v31, v68, v31
	v_lshrrev_b32_e32 v39, 16, v43
	v_mul_f16_e32 v51, v52, v30
	v_mul_f16_e32 v53, v70, v30
	v_fmac_f16_e32 v56, v68, v42
	v_fma_f16 v31, v83, v42, -v31
	v_add_f16_e32 v42, v48, v80
	v_fma_f16 v30, v73, v40, -v50
	v_fmac_f16_e32 v51, v70, v41
	v_fma_f16 v40, v52, v41, -v53
	v_lshrrev_b32_e32 v41, 16, v45
	v_mul_f16_e32 v50, v79, v39
	v_mul_f16_e32 v39, v66, v39
	v_add_f16_e32 v53, v27, v59
	v_fma_f16 v42, -0.5, v42, v27
	v_sub_f16_e32 v58, v47, v35
	v_add_f16_e32 v67, v59, v74
	v_mul_f16_e32 v52, v77, v41
	v_fmac_f16_e32 v50, v66, v43
	v_fma_f16 v39, v79, v43, -v39
	v_add_f16_e32 v43, v53, v48
	v_fmamk_f16 v53, v58, 0xbb9c, v42
	v_sub_f16_e32 v63, v49, v72
	v_sub_f16_e32 v64, v59, v48
	;; [unrolled: 1-line block ×3, first 2 shown]
	v_mul_f16_e32 v41, v60, v41
	v_fmac_f16_e32 v27, -0.5, v67
	v_fmac_f16_e32 v42, 0x3b9c, v58
	v_add_f16_e32 v67, v62, v47
	v_fmac_f16_e32 v52, v60, v45
	v_fmac_f16_e32 v53, 0xb8b4, v63
	v_add_f16_e32 v60, v64, v66
	v_fma_f16 v41, v77, v45, -v41
	v_fmamk_f16 v45, v63, 0x3b9c, v27
	v_sub_f16_e32 v64, v48, v59
	v_sub_f16_e32 v66, v80, v74
	v_fmac_f16_e32 v42, 0x38b4, v63
	v_add_f16_e32 v68, v49, v72
	v_fmac_f16_e32 v27, 0xbb9c, v63
	v_add_f16_e32 v63, v67, v49
	;; [unrolled: 2-line block ×3, first 2 shown]
	v_fma_f16 v66, -0.5, v68, v62
	v_sub_f16_e32 v59, v59, v74
	v_fmac_f16_e32 v27, 0x38b4, v58
	v_add_f16_e32 v58, v63, v72
	v_add_f16_e32 v63, v47, v35
	v_fmac_f16_e32 v53, 0x34f2, v60
	v_fmac_f16_e32 v42, 0x34f2, v60
	v_fmamk_f16 v60, v59, 0x3b9c, v66
	v_sub_f16_e32 v48, v48, v80
	v_sub_f16_e32 v67, v47, v49
	;; [unrolled: 1-line block ×3, first 2 shown]
	v_fmac_f16_e32 v62, -0.5, v63
	v_add_f16_e32 v58, v58, v35
	v_fmac_f16_e32 v66, 0xbb9c, v59
	v_sub_f16_e32 v47, v49, v47
	v_sub_f16_e32 v35, v72, v35
	v_add_f16_e32 v49, v81, v76
	v_fmac_f16_e32 v45, 0x34f2, v64
	v_fmac_f16_e32 v27, 0x34f2, v64
	;; [unrolled: 1-line block ×3, first 2 shown]
	v_fmamk_f16 v64, v48, 0xbb9c, v62
	v_fmac_f16_e32 v66, 0xb8b4, v48
	v_add_f16_e32 v35, v47, v35
	v_fmac_f16_e32 v62, 0x3b9c, v48
	v_add_f16_e32 v47, v49, v61
	v_add_f16_e32 v48, v61, v54
	;; [unrolled: 1-line block ×3, first 2 shown]
	v_fmac_f16_e32 v64, 0x38b4, v59
	v_fmac_f16_e32 v62, 0xb8b4, v59
	v_add_f16_e32 v47, v47, v54
	v_fma_f16 v48, -0.5, v48, v81
	v_add_f16_e32 v49, v76, v84
	v_sub_f16_e32 v59, v55, v44
	v_fmac_f16_e32 v60, 0x34f2, v63
	v_fmac_f16_e32 v66, 0x34f2, v63
	;; [unrolled: 1-line block ×4, first 2 shown]
	v_add_f16_e32 v35, v47, v84
	v_sub_f16_e32 v47, v57, v69
	v_fmac_f16_e32 v81, -0.5, v49
	v_fmamk_f16 v49, v59, 0xbb9c, v48
	v_sub_f16_e32 v63, v76, v61
	v_sub_f16_e32 v67, v84, v54
	v_fmac_f16_e32 v48, 0x3b9c, v59
	v_fmamk_f16 v68, v47, 0x3b9c, v81
	v_sub_f16_e32 v70, v61, v76
	v_sub_f16_e32 v71, v54, v84
	v_fmac_f16_e32 v49, 0xb8b4, v47
	v_add_f16_e32 v63, v63, v67
	v_fmac_f16_e32 v48, 0x38b4, v47
	v_fmac_f16_e32 v81, 0xbb9c, v47
	v_add_f16_e32 v47, v57, v69
	v_fmac_f16_e32 v68, 0xb8b4, v59
	v_add_f16_e32 v67, v70, v71
	v_fmac_f16_e32 v49, 0x34f2, v63
	v_fmac_f16_e32 v48, 0x34f2, v63
	;; [unrolled: 1-line block ×3, first 2 shown]
	v_add_f16_e32 v59, v55, v44
	v_fma_f16 v47, -0.5, v47, v46
	v_sub_f16_e32 v63, v76, v84
	v_fmac_f16_e32 v68, 0x34f2, v67
	v_add_f16_e32 v70, v46, v55
	v_sub_f16_e32 v54, v61, v54
	v_fmac_f16_e32 v46, -0.5, v59
	v_fmac_f16_e32 v81, 0x34f2, v67
	v_fmamk_f16 v59, v63, 0x3b9c, v47
	v_sub_f16_e32 v61, v55, v57
	v_sub_f16_e32 v67, v44, v69
	v_fmamk_f16 v71, v54, 0xbb9c, v46
	v_sub_f16_e32 v55, v57, v55
	v_sub_f16_e32 v72, v69, v44
	v_fmac_f16_e32 v46, 0x3b9c, v54
	v_fmac_f16_e32 v59, 0x38b4, v54
	v_add_f16_e32 v61, v61, v67
	v_fmac_f16_e32 v47, 0xbb9c, v63
	v_fmac_f16_e32 v71, 0x38b4, v63
	v_add_f16_e32 v55, v55, v72
	v_fmac_f16_e32 v46, 0xb8b4, v63
	v_add_f16_e32 v57, v70, v57
	v_fmac_f16_e32 v59, 0x34f2, v61
	v_fmac_f16_e32 v47, 0xb8b4, v54
	v_add_f16_e32 v43, v43, v80
	v_fmac_f16_e32 v71, 0x34f2, v55
	v_fmac_f16_e32 v46, 0x34f2, v55
	v_add_f16_e32 v54, v57, v69
	v_mul_f16_e32 v55, 0xb8b4, v59
	v_fmac_f16_e32 v47, 0x34f2, v61
	v_add_f16_e32 v43, v43, v74
	v_mul_f16_e32 v57, 0xbb9c, v71
	v_add_f16_e32 v44, v54, v44
	v_fmac_f16_e32 v55, 0x3a79, v49
	v_mul_f16_e32 v54, 0xb8b4, v47
	v_mul_f16_e32 v71, 0x34f2, v71
	;; [unrolled: 1-line block ×3, first 2 shown]
	v_add_f16_e32 v61, v43, v35
	v_add_f16_e32 v67, v53, v55
	v_fmac_f16_e32 v54, 0xba79, v48
	v_mul_f16_e32 v59, 0x3a79, v59
	v_mul_f16_e32 v47, 0xba79, v47
	v_fmac_f16_e32 v71, 0x3b9c, v68
	v_sub_f16_e32 v35, v43, v35
	v_sub_f16_e32 v43, v53, v55
	v_add_f16_e32 v53, v37, v51
	v_fmac_f16_e32 v57, 0x34f2, v68
	v_fmac_f16_e32 v63, 0xb4f2, v81
	v_mul_f16_e32 v46, 0xb4f2, v46
	v_add_f16_e32 v72, v42, v54
	v_fmac_f16_e32 v59, 0x38b4, v49
	v_fmac_f16_e32 v47, 0x38b4, v48
	v_add_f16_e32 v48, v58, v44
	v_add_f16_e32 v68, v64, v71
	v_sub_f16_e32 v42, v42, v54
	v_add_f16_e32 v54, v10, v65
	v_fma_f16 v53, -0.5, v53, v10
	v_sub_f16_e32 v55, v36, v39
	v_sub_f16_e32 v44, v58, v44
	v_sub_f16_e32 v58, v64, v71
	v_add_f16_e32 v71, v65, v50
	v_add_f16_e32 v69, v45, v57
	;; [unrolled: 1-line block ×3, first 2 shown]
	v_fmac_f16_e32 v46, 0x3b9c, v81
	v_add_f16_e32 v49, v60, v59
	v_sub_f16_e32 v45, v45, v57
	v_sub_f16_e32 v27, v27, v63
	;; [unrolled: 1-line block ×3, first 2 shown]
	v_add_f16_e32 v54, v54, v37
	v_fmamk_f16 v59, v55, 0xbb9c, v53
	v_sub_f16_e32 v60, v38, v40
	v_sub_f16_e32 v63, v65, v37
	;; [unrolled: 1-line block ×3, first 2 shown]
	v_fmac_f16_e32 v10, -0.5, v71
	v_fmac_f16_e32 v53, 0x3b9c, v55
	v_add_f16_e32 v71, v26, v36
	v_add_f16_e32 v73, v62, v46
	;; [unrolled: 1-line block ×3, first 2 shown]
	v_sub_f16_e32 v46, v62, v46
	v_add_f16_e32 v54, v54, v51
	v_fmac_f16_e32 v59, 0xb8b4, v60
	v_add_f16_e32 v62, v63, v64
	v_sub_f16_e32 v47, v66, v47
	v_fmamk_f16 v63, v60, 0x3b9c, v10
	v_sub_f16_e32 v64, v37, v65
	v_sub_f16_e32 v66, v51, v50
	v_fmac_f16_e32 v53, 0x38b4, v60
	v_add_f16_e32 v75, v38, v40
	v_fmac_f16_e32 v10, 0xbb9c, v60
	v_add_f16_e32 v60, v71, v38
	v_add_f16_e32 v54, v54, v50
	v_fmac_f16_e32 v59, 0x34f2, v62
	v_fmac_f16_e32 v63, 0xb8b4, v55
	v_add_f16_e32 v64, v64, v66
	v_fma_f16 v66, -0.5, v75, v26
	v_sub_f16_e32 v50, v65, v50
	v_fmac_f16_e32 v53, 0x34f2, v62
	v_fmac_f16_e32 v10, 0x38b4, v55
	v_add_f16_e32 v55, v60, v40
	v_add_f16_e32 v62, v36, v39
	v_fmamk_f16 v60, v50, 0x3b9c, v66
	v_sub_f16_e32 v37, v37, v51
	v_sub_f16_e32 v51, v36, v38
	;; [unrolled: 1-line block ×3, first 2 shown]
	v_fmac_f16_e32 v26, -0.5, v62
	v_add_f16_e32 v55, v55, v39
	v_fmac_f16_e32 v66, 0xbb9c, v50
	v_sub_f16_e32 v36, v38, v36
	v_sub_f16_e32 v38, v40, v39
	v_add_f16_e32 v39, v28, v33
	v_fmac_f16_e32 v60, 0x38b4, v37
	v_fmamk_f16 v62, v37, 0xbb9c, v26
	v_fmac_f16_e32 v66, 0xb8b4, v37
	v_fmac_f16_e32 v26, 0x3b9c, v37
	v_add_f16_e32 v37, v39, v34
	v_add_f16_e32 v36, v36, v38
	;; [unrolled: 1-line block ×3, first 2 shown]
	v_fmac_f16_e32 v62, 0x38b4, v50
	v_fmac_f16_e32 v26, 0xb8b4, v50
	v_add_f16_e32 v37, v37, v56
	v_add_f16_e32 v39, v33, v52
	v_fma_f16 v38, -0.5, v38, v28
	v_sub_f16_e32 v40, v32, v41
	v_add_f16_e32 v51, v51, v65
	v_fmac_f16_e32 v62, 0x34f2, v36
	v_fmac_f16_e32 v26, 0x34f2, v36
	v_add_f16_e32 v36, v37, v52
	v_sub_f16_e32 v37, v30, v31
	v_fmac_f16_e32 v28, -0.5, v39
	v_fmamk_f16 v39, v40, 0xbb9c, v38
	v_fmac_f16_e32 v38, 0x3b9c, v40
	v_fmac_f16_e32 v63, 0x34f2, v64
	;; [unrolled: 1-line block ×5, first 2 shown]
	v_sub_f16_e32 v50, v33, v34
	v_sub_f16_e32 v51, v52, v56
	v_fmamk_f16 v64, v37, 0x3b9c, v28
	v_fmac_f16_e32 v28, 0xbb9c, v37
	v_sub_f16_e32 v65, v34, v33
	v_sub_f16_e32 v71, v56, v52
	v_fmac_f16_e32 v39, 0xb8b4, v37
	v_fmac_f16_e32 v38, 0x38b4, v37
	v_add_f16_e32 v37, v30, v31
	v_add_f16_e32 v50, v50, v51
	v_fmac_f16_e32 v64, 0xb8b4, v40
	v_fmac_f16_e32 v28, 0x38b4, v40
	v_add_f16_e32 v40, v32, v41
	v_add_f16_e32 v51, v65, v71
	v_fma_f16 v37, -0.5, v37, v29
	v_sub_f16_e32 v33, v33, v52
	v_fmac_f16_e32 v39, 0x34f2, v50
	v_fmac_f16_e32 v38, 0x34f2, v50
	v_add_f16_e32 v50, v29, v32
	v_sub_f16_e32 v34, v34, v56
	v_fmac_f16_e32 v29, -0.5, v40
	v_fmac_f16_e32 v64, 0x34f2, v51
	v_fmac_f16_e32 v28, 0x34f2, v51
	v_fmamk_f16 v40, v33, 0x3b9c, v37
	v_sub_f16_e32 v51, v32, v30
	v_sub_f16_e32 v52, v41, v31
	v_fmamk_f16 v56, v34, 0xbb9c, v29
	v_sub_f16_e32 v32, v30, v32
	v_sub_f16_e32 v65, v31, v41
	v_fmac_f16_e32 v29, 0x3b9c, v34
	v_fmac_f16_e32 v37, 0xbb9c, v33
	;; [unrolled: 1-line block ×3, first 2 shown]
	v_add_f16_e32 v51, v51, v52
	v_fmac_f16_e32 v56, 0x38b4, v33
	v_add_f16_e32 v32, v32, v65
	v_fmac_f16_e32 v29, 0xb8b4, v33
	v_fmac_f16_e32 v37, 0xb8b4, v34
	v_add_f16_e32 v30, v50, v30
	v_fmac_f16_e32 v40, 0x34f2, v51
	v_fmac_f16_e32 v56, 0x34f2, v32
	;; [unrolled: 1-line block ×4, first 2 shown]
	v_add_f16_e32 v30, v30, v31
	v_mul_f16_e32 v31, 0xb8b4, v40
	v_mul_f16_e32 v32, 0xbb9c, v56
	;; [unrolled: 1-line block ×5, first 2 shown]
	v_fmac_f16_e32 v31, 0x3a79, v39
	v_fmac_f16_e32 v32, 0x34f2, v64
	;; [unrolled: 1-line block ×4, first 2 shown]
	v_mul_f16_e32 v40, 0x3a79, v40
	v_mul_f16_e32 v56, 0x34f2, v56
	;; [unrolled: 1-line block ×3, first 2 shown]
	v_fmac_f16_e32 v29, 0x3b9c, v28
	v_add_f16_e32 v50, v59, v31
	v_sub_f16_e32 v31, v59, v31
	v_add_f16_e32 v30, v30, v41
	v_add_f16_e32 v41, v54, v36
	;; [unrolled: 1-line block ×5, first 2 shown]
	v_fmac_f16_e32 v40, 0x38b4, v39
	v_fmac_f16_e32 v56, 0x3b9c, v64
	;; [unrolled: 1-line block ×3, first 2 shown]
	v_sub_f16_e32 v36, v54, v36
	v_sub_f16_e32 v32, v63, v32
	;; [unrolled: 1-line block ×4, first 2 shown]
	s_barrier_signal -1
	s_barrier_wait -1
	global_inv scope:SCOPE_SE
	ds_store_b16 v13, v61
	ds_store_b16 v13, v67 offset:20
	ds_store_b16 v13, v69 offset:40
	;; [unrolled: 1-line block ×9, first 2 shown]
	ds_store_b16 v17, v41
	ds_store_b16 v17, v50 offset:20
	ds_store_b16 v17, v51 offset:40
	;; [unrolled: 1-line block ×9, first 2 shown]
	v_lshrrev_b16 v31, 2, v11
	v_add_f16_e32 v64, v26, v29
	v_sub_f16_e32 v29, v26, v29
	v_lshl_add_u32 v26, v14, 1, 0
	s_wait_alu 0xf1ff
	v_cndmask_b32_e64 v72, v19, v1, s0
	v_add_f16_e32 v28, v55, v30
	v_add_f16_e32 v38, v60, v40
	;; [unrolled: 1-line block ×4, first 2 shown]
	v_sub_f16_e32 v30, v55, v30
	v_sub_f16_e32 v34, v60, v40
	;; [unrolled: 1-line block ×4, first 2 shown]
	global_wb scope:SCOPE_SE
	s_wait_dscnt 0x0
	s_barrier_signal -1
	s_barrier_wait -1
	global_inv scope:SCOPE_SE
	v_lshl_add_u32 v27, v15, 1, 0
	ds_load_u16 v10, v0 offset:3520
	ds_load_u16 v43, v0 offset:3840
	ds_load_u16 v45, v2
	ds_load_u16 v50, v26
	;; [unrolled: 1-line block ×3, first 2 shown]
	ds_load_u16 v52, v0 offset:1920
	ds_load_u16 v53, v0 offset:2240
	;; [unrolled: 1-line block ×7, first 2 shown]
	ds_load_u16 v61, v27
	ds_load_u16 v62, v22
	ds_load_u16 v63, v0 offset:3200
	ds_load_u16 v65, v0 offset:2880
	ds_load_u16 v66, v25
	ds_load_u16 v67, v0 offset:6080
	ds_load_u16 v69, v0 offset:4800
	;; [unrolled: 1-line block ×3, first 2 shown]
	global_wb scope:SCOPE_SE
	s_wait_dscnt 0x0
	s_barrier_signal -1
	s_barrier_wait -1
	global_inv scope:SCOPE_SE
	ds_store_b16 v13, v48
	ds_store_b16 v13, v49 offset:20
	ds_store_b16 v13, v68 offset:40
	;; [unrolled: 1-line block ×9, first 2 shown]
	v_and_b32_e32 v13, 0xffff, v31
	v_mul_i32_i24_e32 v19, 3, v72
	ds_store_b16 v17, v28
	ds_store_b16 v17, v38 offset:20
	ds_store_b16 v17, v39 offset:40
	;; [unrolled: 1-line block ×9, first 2 shown]
	v_lshrrev_b16 v17, 2, v7
	v_mul_u32_u24_e32 v13, 0x147b, v13
	v_lshlrev_b64_e32 v[28:29], 2, v[19:20]
	global_wb scope:SCOPE_SE
	s_wait_dscnt 0x0
	s_barrier_signal -1
	v_and_b32_e32 v17, 0xffff, v17
	v_lshrrev_b32_e32 v13, 17, v13
	s_barrier_wait -1
	v_add_co_u32 v28, s0, s8, v28
	s_wait_alu 0xf1ff
	v_add_co_ci_u32_e64 v29, s0, s9, v29, s0
	v_mul_lo_u16 v19, 0x64, v13
	v_mul_u32_u24_e32 v17, 0x147b, v17
	global_inv scope:SCOPE_SE
	global_load_b96 v[28:30], v[28:29], off offset:360
	v_lshrrev_b16 v32, 2, v14
	v_sub_nc_u16 v19, v11, v19
	v_lshrrev_b32_e32 v17, 17, v17
	v_cmp_lt_u32_e64 s0, 0x63, v1
	v_lshlrev_b32_e32 v72, 1, v72
	v_and_b32_e32 v34, 0xffff, v32
	v_and_b32_e32 v19, 0xffff, v19
	v_mul_lo_u16 v33, 0x64, v17
	v_mul_u32_u24_e32 v13, 0x320, v13
	v_mul_u32_u24_e32 v17, 0x320, v17
	;; [unrolled: 1-line block ×4, first 2 shown]
	v_sub_nc_u16 v35, v7, v33
	v_lshlrev_b32_e32 v19, 1, v19
	s_delay_alu instid0(VALU_DEP_4) | instskip(NEXT) | instid1(VALU_DEP_4)
	v_lshrrev_b32_e32 v46, 17, v34
	v_lshlrev_b32_e32 v31, 2, v31
	s_delay_alu instid0(VALU_DEP_4)
	v_and_b32_e32 v44, 0xffff, v35
	v_lshrrev_b16 v34, 2, v8
	v_add3_u32 v13, 0, v13, v19
	v_mul_lo_u16 v36, 0x64, v46
	global_load_b96 v[31:33], v31, s[8:9] offset:360
	v_mul_u32_u24_e32 v35, 3, v44
	v_and_b32_e32 v34, 0xffff, v34
	v_lshlrev_b32_e32 v19, 1, v44
	v_sub_nc_u16 v37, v14, v36
	s_delay_alu instid0(VALU_DEP_4) | instskip(NEXT) | instid1(VALU_DEP_4)
	v_lshlrev_b32_e32 v35, 2, v35
	v_mul_u32_u24_e32 v38, 0x147b, v34
	s_delay_alu instid0(VALU_DEP_4) | instskip(NEXT) | instid1(VALU_DEP_4)
	v_add3_u32 v17, 0, v17, v19
	v_and_b32_e32 v47, 0xffff, v37
	v_mul_u32_u24_e32 v19, 0x320, v46
	global_load_b96 v[34:36], v35, s[8:9] offset:360
	v_lshrrev_b32_e32 v48, 17, v38
	v_mul_u32_u24_e32 v37, 3, v47
	s_delay_alu instid0(VALU_DEP_2) | instskip(NEXT) | instid1(VALU_DEP_2)
	v_mul_lo_u16 v38, 0x64, v48
	v_lshlrev_b32_e32 v37, 2, v37
	s_delay_alu instid0(VALU_DEP_2) | instskip(SKIP_2) | instid1(VALU_DEP_1)
	v_sub_nc_u16 v40, v8, v38
	global_load_b96 v[37:39], v37, s[8:9] offset:360
	v_and_b32_e32 v49, 0xffff, v40
	v_mul_u32_u24_e32 v40, 3, v49
	s_delay_alu instid0(VALU_DEP_1)
	v_lshlrev_b32_e32 v40, 2, v40
	global_load_b96 v[40:42], v40, s[8:9] offset:360
	ds_load_u16 v57, v27
	ds_load_u16 v58, v0 offset:3200
	ds_load_u16 v64, v0 offset:4800
	;; [unrolled: 1-line block ×5, first 2 shown]
	ds_load_u16 v74, v26
	ds_load_u16 v76, v0 offset:5120
	ds_load_u16 v77, v0 offset:5440
	ds_load_u16 v78, v0 offset:5760
	ds_load_u16 v79, v22
	ds_load_u16 v82, v0 offset:2880
	ds_load_u16 v83, v0 offset:6080
	s_wait_loadcnt 0x4
	v_lshrrev_b32_e32 v75, 16, v28
	v_lshrrev_b32_e32 v81, 16, v29
	;; [unrolled: 1-line block ×3, first 2 shown]
	s_wait_dscnt 0xc
	s_delay_alu instid0(VALU_DEP_3) | instskip(SKIP_1) | instid1(VALU_DEP_2)
	v_mul_f16_e32 v80, v57, v75
	v_mul_f16_e32 v75, v61, v75
	v_fmac_f16_e32 v80, v61, v28
	s_wait_dscnt 0xb
	v_mul_f16_e32 v61, v58, v81
	s_delay_alu instid0(VALU_DEP_3)
	v_fma_f16 v28, v57, v28, -v75
	ds_load_u16 v57, v0 offset:4480
	v_mul_f16_e32 v75, v63, v81
	v_mul_f16_e32 v81, v69, v84
	v_fmac_f16_e32 v61, v63, v29
	s_wait_dscnt 0xb
	v_mul_f16_e32 v63, v64, v84
	v_fma_f16 v29, v58, v29, -v75
	s_wait_loadcnt 0x3
	v_lshrrev_b32_e32 v58, 16, v31
	s_delay_alu instid0(VALU_DEP_3)
	v_fmac_f16_e32 v63, v69, v30
	v_fma_f16 v30, v64, v30, -v81
	ds_load_u16 v64, v0 offset:2240
	ds_load_u16 v69, v0 offset:2560
	v_lshrrev_b32_e32 v81, 16, v32
	s_wait_dscnt 0xc
	v_mul_f16_e32 v75, v68, v58
	v_mul_f16_e32 v58, v52, v58
	v_lshrrev_b32_e32 v84, 16, v33
	v_sub_f16_e32 v30, v28, v30
	s_delay_alu instid0(VALU_DEP_4)
	v_fmac_f16_e32 v75, v52, v31
	s_wait_dscnt 0xb
	v_mul_f16_e32 v52, v71, v81
	v_fma_f16 v31, v68, v31, -v58
	v_mul_f16_e32 v58, v10, v81
	v_mul_f16_e32 v68, v56, v84
	s_wait_loadcnt 0x2
	v_lshrrev_b32_e32 v81, 16, v34
	v_fmac_f16_e32 v52, v10, v32
	s_wait_dscnt 0x8
	v_mul_f16_e32 v10, v76, v84
	v_fma_f16 v32, v71, v32, -v58
	ds_load_u16 v58, v0 offset:4160
	ds_load_u16 v84, v2
	v_sub_f16_e32 v52, v45, v52
	v_fmac_f16_e32 v10, v56, v33
	v_fma_f16 v33, v76, v33, -v68
	s_wait_dscnt 0x3
	v_mul_f16_e32 v56, v64, v81
	v_lshrrev_b32_e32 v68, 16, v35
	v_mul_f16_e32 v76, v53, v81
	v_lshrrev_b32_e32 v81, 16, v36
	v_sub_f16_e32 v10, v75, v10
	v_fmac_f16_e32 v56, v53, v34
	v_mul_f16_e32 v53, v73, v68
	v_fma_f16 v34, v64, v34, -v76
	v_mul_f16_e32 v64, v43, v68
	v_mul_f16_e32 v68, v77, v81
	s_wait_loadcnt 0x1
	v_lshrrev_b32_e32 v76, 16, v37
	v_fmac_f16_e32 v53, v43, v35
	v_mul_f16_e32 v43, v59, v81
	v_fma_f16 v35, v73, v35, -v64
	ds_load_u16 v73, v25
	v_fmac_f16_e32 v68, v59, v36
	v_lshrrev_b32_e32 v59, 16, v38
	v_fma_f16 v36, v77, v36, -v43
	s_wait_dscnt 0x3
	v_mul_f16_e32 v43, v69, v76
	ds_load_u16 v71, v0
	v_mul_f16_e32 v64, v54, v76
	s_wait_dscnt 0x3
	v_mul_f16_e32 v76, v58, v59
	v_lshrrev_b32_e32 v77, 16, v39
	v_fmac_f16_e32 v43, v54, v37
	v_mul_f16_e32 v54, v55, v59
	v_fma_f16 v37, v69, v37, -v64
	v_fmac_f16_e32 v76, v55, v38
	v_mul_f16_e32 v55, v78, v77
	v_mul_f16_e32 v59, v60, v77
	s_wait_loadcnt 0x0
	v_lshrrev_b32_e32 v64, 16, v40
	v_fma_f16 v38, v58, v38, -v54
	v_lshrrev_b32_e32 v54, 16, v41
	v_fmac_f16_e32 v55, v60, v39
	v_fma_f16 v39, v78, v39, -v59
	v_mul_f16_e32 v58, v82, v64
	v_mul_f16_e32 v59, v65, v64
	;; [unrolled: 1-line block ×4, first 2 shown]
	v_lshrrev_b32_e32 v64, 16, v42
	v_fmac_f16_e32 v58, v65, v40
	v_fma_f16 v40, v82, v40, -v59
	v_fmac_f16_e32 v60, v70, v41
	v_fma_f16 v41, v57, v41, -v54
	v_sub_f16_e32 v54, v51, v61
	v_sub_f16_e32 v59, v80, v63
	v_mul_f16_e32 v57, v83, v64
	s_wait_dscnt 0x1
	v_sub_f16_e32 v35, v73, v35
	v_mul_f16_e32 v61, v67, v64
	v_fma_f16 v51, v51, 2.0, -v54
	v_fma_f16 v63, v80, 2.0, -v59
	v_fmac_f16_e32 v57, v67, v42
	v_fma_f16 v45, v45, 2.0, -v52
	v_fma_f16 v65, v75, 2.0, -v10
	v_sub_f16_e32 v67, v56, v68
	v_sub_f16_e32 v63, v51, v63
	v_fma_f16 v68, v73, 2.0, -v35
	s_wait_alu 0xf1ff
	v_cndmask_b32_e64 v73, 0, 0x320, s0
	s_wait_dscnt 0x0
	v_sub_f16_e32 v29, v71, v29
	v_fma_f16 v28, v28, 2.0, -v30
	v_sub_f16_e32 v33, v31, v33
	v_add_f16_e32 v30, v54, v30
	v_sub_f16_e32 v53, v66, v53
	v_sub_f16_e32 v69, v50, v76
	;; [unrolled: 1-line block ×3, first 2 shown]
	v_fma_f16 v42, v83, v42, -v61
	v_sub_f16_e32 v32, v84, v32
	v_fma_f16 v51, v51, 2.0, -v63
	v_sub_f16_e32 v65, v45, v65
	v_sub_f16_e32 v60, v62, v60
	;; [unrolled: 1-line block ×3, first 2 shown]
	v_add3_u32 v72, 0, v73, v72
	v_fma_f16 v61, v71, 2.0, -v29
	v_fma_f16 v31, v31, 2.0, -v33
	;; [unrolled: 1-line block ×3, first 2 shown]
	v_add_f16_e32 v33, v52, v33
	v_sub_f16_e32 v36, v34, v36
	v_fma_f16 v66, v66, 2.0, -v53
	v_fma_f16 v56, v56, 2.0, -v67
	v_sub_f16_e32 v38, v74, v38
	v_fma_f16 v50, v50, 2.0, -v69
	v_sub_f16_e32 v39, v37, v39
	v_fma_f16 v43, v43, 2.0, -v55
	v_fma_f16 v64, v84, 2.0, -v32
	;; [unrolled: 1-line block ×3, first 2 shown]
	v_sub_f16_e32 v42, v40, v42
	v_fma_f16 v62, v62, 2.0, -v60
	v_fma_f16 v58, v58, 2.0, -v57
	global_wb scope:SCOPE_SE
	s_barrier_signal -1
	s_barrier_wait -1
	global_inv scope:SCOPE_SE
	ds_store_b16 v72, v51
	ds_store_b16 v72, v54 offset:200
	ds_store_b16 v72, v63 offset:400
	;; [unrolled: 1-line block ×3, first 2 shown]
	v_lshlrev_b32_e32 v30, 1, v47
	v_sub_f16_e32 v28, v61, v28
	v_fma_f16 v34, v34, 2.0, -v36
	v_fma_f16 v52, v52, 2.0, -v33
	v_sub_f16_e32 v56, v66, v56
	v_fma_f16 v70, v74, 2.0, -v38
	v_fma_f16 v37, v37, 2.0, -v39
	v_sub_f16_e32 v43, v50, v43
	v_sub_f16_e32 v41, v79, v41
	v_sub_f16_e32 v59, v29, v59
	v_add_f16_e32 v36, v53, v36
	v_add_f16_e32 v39, v69, v39
	v_sub_f16_e32 v31, v64, v31
	v_fma_f16 v40, v40, 2.0, -v42
	v_sub_f16_e32 v58, v62, v58
	v_add_f16_e32 v42, v60, v42
	ds_store_b16 v13, v45
	ds_store_b16 v13, v52 offset:200
	ds_store_b16 v13, v65 offset:400
	;; [unrolled: 1-line block ×3, first 2 shown]
	v_add3_u32 v19, 0, v19, v30
	v_mul_u32_u24_e32 v30, 0x320, v48
	v_lshlrev_b32_e32 v33, 1, v49
	v_fma_f16 v61, v61, 2.0, -v28
	v_sub_f16_e32 v10, v32, v10
	v_sub_f16_e32 v34, v68, v34
	v_fma_f16 v66, v66, 2.0, -v56
	v_sub_f16_e32 v67, v35, v67
	v_sub_f16_e32 v37, v70, v37
	v_fma_f16 v50, v50, 2.0, -v43
	v_fma_f16 v71, v79, 2.0, -v41
	v_sub_f16_e32 v55, v38, v55
	v_fma_f16 v29, v29, 2.0, -v59
	v_fma_f16 v53, v53, 2.0, -v36
	;; [unrolled: 1-line block ×6, first 2 shown]
	v_add3_u32 v30, 0, v30, v33
	v_fma_f16 v32, v32, 2.0, -v10
	v_fma_f16 v68, v68, 2.0, -v34
	;; [unrolled: 1-line block ×4, first 2 shown]
	v_sub_f16_e32 v40, v71, v40
	v_fma_f16 v38, v38, 2.0, -v55
	ds_store_b16 v17, v66
	ds_store_b16 v17, v53 offset:200
	ds_store_b16 v17, v56 offset:400
	ds_store_b16 v17, v36 offset:600
	ds_store_b16 v19, v50
	ds_store_b16 v19, v69 offset:200
	ds_store_b16 v19, v43 offset:400
	ds_store_b16 v19, v39 offset:600
	;; [unrolled: 4-line block ×3, first 2 shown]
	global_wb scope:SCOPE_SE
	s_wait_dscnt 0x0
	s_barrier_signal -1
	s_barrier_wait -1
	global_inv scope:SCOPE_SE
	ds_load_u16 v43, v0 offset:3520
	ds_load_u16 v44, v0 offset:3840
	ds_load_u16 v45, v2
	ds_load_u16 v46, v26
	;; [unrolled: 1-line block ×3, first 2 shown]
	ds_load_u16 v48, v0 offset:1920
	ds_load_u16 v49, v0 offset:2240
	;; [unrolled: 1-line block ×7, first 2 shown]
	ds_load_u16 v56, v27
	ds_load_u16 v58, v22
	ds_load_u16 v60, v0 offset:3200
	ds_load_u16 v62, v0 offset:2880
	ds_load_u16 v63, v25
	ds_load_u16 v65, v0 offset:6080
	ds_load_u16 v66, v0 offset:4800
	;; [unrolled: 1-line block ×3, first 2 shown]
	global_wb scope:SCOPE_SE
	s_wait_dscnt 0x0
	s_barrier_signal -1
	s_barrier_wait -1
	global_inv scope:SCOPE_SE
	ds_store_b16 v72, v61
	ds_store_b16 v72, v29 offset:200
	ds_store_b16 v72, v28 offset:400
	ds_store_b16 v72, v59 offset:600
	ds_store_b16 v13, v64
	ds_store_b16 v13, v32 offset:200
	ds_store_b16 v13, v31 offset:400
	ds_store_b16 v13, v10 offset:600
	;; [unrolled: 4-line block ×4, first 2 shown]
	v_mul_u32_u24_e32 v10, 3, v1
	v_sub_f16_e32 v57, v41, v57
	v_mul_i32_i24_e32 v19, 3, v11
	v_fma_f16 v71, v71, 2.0, -v40
	v_add_nc_u32_e32 v13, 0xffffffb0, v1
	v_lshlrev_b32_e32 v10, 2, v10
	v_fma_f16 v41, v41, 2.0, -v57
	v_lshlrev_b64_e32 v[31:32], 2, v[19:20]
	v_cmp_gt_u32_e64 s0, 0x50, v1
	ds_store_b16 v30, v71
	ds_store_b16 v30, v41 offset:200
	ds_store_b16 v30, v40 offset:400
	;; [unrolled: 1-line block ×3, first 2 shown]
	global_wb scope:SCOPE_SE
	s_wait_dscnt 0x0
	s_barrier_signal -1
	s_barrier_wait -1
	global_inv scope:SCOPE_SE
	global_load_b96 v[28:30], v10, s[8:9] offset:1560
	s_wait_alu 0xf1ff
	v_cndmask_b32_e64 v13, v13, v7, s0
	v_add_co_u32 v31, s0, s8, v31
	s_wait_alu 0xf1ff
	v_add_co_ci_u32_e64 v32, s0, s9, v32, s0
	s_delay_alu instid0(VALU_DEP_3) | instskip(SKIP_3) | instid1(VALU_DEP_1)
	v_mul_i32_i24_e32 v19, 3, v13
	v_lshlrev_b32_e32 v13, 1, v13
	global_load_b96 v[31:33], v[31:32], off offset:1560
	v_lshlrev_b64_e32 v[34:35], 2, v[19:20]
	v_add_co_u32 v34, s0, s8, v34
	s_wait_alu 0xf1ff
	s_delay_alu instid0(VALU_DEP_2)
	v_add_co_ci_u32_e64 v35, s0, s9, v35, s0
	s_clause 0x2
	global_load_b96 v[34:36], v[34:35], off offset:1560
	global_load_b96 v[37:39], v10, s[8:9] offset:2520
	global_load_b96 v[40:42], v10, s[8:9] offset:4440
	ds_load_u16 v10, v27
	ds_load_u16 v17, v0 offset:3200
	ds_load_u16 v19, v0 offset:3520
	;; [unrolled: 1-line block ×3, first 2 shown]
	ds_load_u16 v57, v2
	ds_load_u16 v59, v26
	;; [unrolled: 1-line block ×3, first 2 shown]
	ds_load_u16 v64, v0 offset:1920
	ds_load_u16 v67, v0 offset:2240
	;; [unrolled: 1-line block ×8, first 2 shown]
	ds_load_u16 v75, v22
	ds_load_u16 v77, v0 offset:2880
	ds_load_u16 v79, v25
	ds_load_u16 v80, v0 offset:6080
	ds_load_u16 v82, v0 offset:4480
	v_cmp_lt_u32_e64 s0, 0x4f, v1
	global_wb scope:SCOPE_SE
	s_wait_loadcnt_dscnt 0x0
	s_barrier_signal -1
	s_barrier_wait -1
	global_inv scope:SCOPE_SE
	v_lshrrev_b32_e32 v76, 16, v28
	v_lshrrev_b32_e32 v78, 16, v29
	;; [unrolled: 1-line block ×3, first 2 shown]
	s_delay_alu instid0(VALU_DEP_3) | instskip(SKIP_1) | instid1(VALU_DEP_4)
	v_mul_f16_e32 v81, v10, v76
	v_mul_f16_e32 v76, v56, v76
	;; [unrolled: 1-line block ×3, first 2 shown]
	s_delay_alu instid0(VALU_DEP_3) | instskip(SKIP_1) | instid1(VALU_DEP_4)
	v_fmac_f16_e32 v81, v56, v28
	v_mul_f16_e32 v56, v60, v78
	v_fma_f16 v10, v10, v28, -v76
	s_delay_alu instid0(VALU_DEP_4)
	v_fmac_f16_e32 v83, v60, v29
	v_mul_f16_e32 v28, v70, v84
	v_lshrrev_b32_e32 v60, 16, v31
	v_fma_f16 v17, v17, v29, -v56
	v_mul_f16_e32 v29, v66, v84
	v_lshrrev_b32_e32 v56, 16, v32
	v_fmac_f16_e32 v28, v66, v30
	v_mul_f16_e32 v66, v64, v60
	v_mul_f16_e32 v60, v48, v60
	v_fma_f16 v29, v70, v30, -v29
	v_mul_f16_e32 v30, v19, v56
	v_lshrrev_b32_e32 v70, 16, v33
	v_fmac_f16_e32 v66, v48, v31
	v_mul_f16_e32 v48, v43, v56
	v_fma_f16 v31, v64, v31, -v60
	v_fmac_f16_e32 v30, v43, v32
	v_mul_f16_e32 v43, v72, v70
	v_lshrrev_b32_e32 v56, 16, v34
	v_mul_f16_e32 v60, v52, v70
	v_fma_f16 v19, v19, v32, -v48
	v_lshrrev_b32_e32 v32, 16, v35
	v_fmac_f16_e32 v43, v52, v33
	v_mul_f16_e32 v48, v67, v56
	v_fma_f16 v33, v72, v33, -v60
	v_mul_f16_e32 v52, v49, v56
	v_mul_f16_e32 v56, v55, v32
	v_lshrrev_b32_e32 v60, 16, v36
	v_fmac_f16_e32 v48, v49, v34
	v_mul_f16_e32 v32, v44, v32
	v_lshrrev_b32_e32 v49, 16, v37
	v_fmac_f16_e32 v56, v44, v35
	v_mul_f16_e32 v44, v73, v60
	v_fma_f16 v34, v67, v34, -v52
	v_fma_f16 v32, v55, v35, -v32
	v_mul_f16_e32 v35, v53, v60
	v_lshrrev_b32_e32 v52, 16, v38
	v_fmac_f16_e32 v44, v53, v36
	v_mul_f16_e32 v53, v68, v49
	v_mul_f16_e32 v49, v50, v49
	v_fma_f16 v35, v73, v36, -v35
	v_mul_f16_e32 v36, v71, v52
	v_lshrrev_b32_e32 v55, 16, v39
	v_fmac_f16_e32 v53, v50, v37
	v_fma_f16 v37, v68, v37, -v49
	v_mul_f16_e32 v49, v51, v52
	v_fmac_f16_e32 v36, v51, v38
	v_mul_f16_e32 v50, v74, v55
	v_mul_f16_e32 v51, v54, v55
	v_lshrrev_b32_e32 v52, 16, v40
	v_fma_f16 v38, v71, v38, -v49
	v_lshrrev_b32_e32 v49, 16, v41
	v_fmac_f16_e32 v50, v54, v39
	v_fma_f16 v39, v74, v39, -v51
	v_mul_f16_e32 v51, v77, v52
	v_mul_f16_e32 v52, v62, v52
	v_mul_f16_e32 v54, v82, v49
	v_mul_f16_e32 v49, v69, v49
	v_lshrrev_b32_e32 v55, 16, v42
	v_fmac_f16_e32 v51, v62, v40
	v_fma_f16 v40, v77, v40, -v52
	v_fmac_f16_e32 v54, v69, v41
	v_fma_f16 v41, v82, v41, -v49
	v_sub_f16_e32 v49, v47, v83
	v_mul_f16_e32 v52, v80, v55
	v_mul_f16_e32 v55, v65, v55
	v_sub_f16_e32 v17, v61, v17
	v_sub_f16_e32 v29, v10, v29
	;; [unrolled: 1-line block ×7, first 2 shown]
	v_fmac_f16_e32 v52, v65, v42
	v_fma_f16 v42, v80, v42, -v55
	v_fma_f16 v55, v61, 2.0, -v17
	v_fma_f16 v10, v10, 2.0, -v29
	;; [unrolled: 1-line block ×6, first 2 shown]
	v_add_f16_e32 v29, v49, v29
	v_fma_f16 v47, v47, 2.0, -v49
	v_fma_f16 v60, v81, 2.0, -v28
	v_sub_f16_e32 v62, v17, v28
	v_sub_f16_e32 v28, v45, v61
	;; [unrolled: 1-line block ×3, first 2 shown]
	v_fma_f16 v31, v49, 2.0, -v29
	v_sub_f16_e32 v49, v63, v56
	v_sub_f16_e32 v32, v79, v32
	;; [unrolled: 1-line block ×5, first 2 shown]
	v_fma_f16 v56, v63, 2.0, -v49
	v_sub_f16_e32 v63, v19, v43
	v_fma_f16 v43, v79, 2.0, -v32
	v_fma_f16 v34, v34, 2.0, -v35
	;; [unrolled: 1-line block ×4, first 2 shown]
	v_sub_f16_e32 v38, v59, v38
	v_sub_f16_e32 v39, v37, v39
	;; [unrolled: 1-line block ×6, first 2 shown]
	v_fma_f16 v37, v37, 2.0, -v39
	v_add_f16_e32 v35, v49, v35
	v_fma_f16 v53, v53, 2.0, -v34
	v_fma_f16 v50, v56, 2.0, -v48
	v_sub_f16_e32 v56, v32, v44
	v_fma_f16 v44, v59, 2.0, -v38
	v_sub_f16_e32 v42, v40, v42
	v_sub_f16_e32 v53, v46, v53
	;; [unrolled: 1-line block ×3, first 2 shown]
	v_fma_f16 v65, v32, 2.0, -v56
	v_sub_f16_e32 v66, v44, v37
	v_sub_f16_e32 v37, v58, v54
	v_fma_f16 v32, v46, 2.0, -v53
	v_sub_f16_e32 v46, v51, v52
	v_fma_f16 v59, v43, 2.0, -v64
	v_fma_f16 v43, v49, 2.0, -v35
	v_add_f16_e32 v39, v36, v39
	v_fma_f16 v49, v58, 2.0, -v37
	v_sub_f16_e32 v67, v41, v46
	v_fma_f16 v51, v51, 2.0, -v46
	v_fma_f16 v52, v75, 2.0, -v41
	;; [unrolled: 1-line block ×3, first 2 shown]
	v_add_f16_e32 v33, v30, v33
	v_fma_f16 v69, v41, 2.0, -v67
	s_wait_alu 0xf1ff
	v_cndmask_b32_e64 v41, 0, 0xc80, s0
	v_fma_f16 v47, v47, 2.0, -v60
	v_sub_f16_e32 v58, v38, v34
	v_fma_f16 v34, v36, 2.0, -v39
	v_sub_f16_e32 v36, v49, v51
	;; [unrolled: 2-line block ×3, first 2 shown]
	v_add_f16_e32 v40, v37, v42
	v_add3_u32 v13, 0, v41, v13
	v_fma_f16 v30, v30, 2.0, -v33
	v_fma_f16 v68, v38, 2.0, -v58
	;; [unrolled: 1-line block ×3, first 2 shown]
	ds_store_b16 v0, v47
	ds_store_b16 v0, v31 offset:800
	ds_store_b16 v0, v60 offset:1600
	;; [unrolled: 1-line block ×3, first 2 shown]
	v_lshl_add_u32 v60, v1, 1, 0
	v_fma_f16 v54, v44, 2.0, -v66
	v_fma_f16 v37, v37, 2.0, -v40
	ds_store_b16 v2, v45
	ds_store_b16 v2, v30 offset:800
	ds_store_b16 v2, v28 offset:1600
	;; [unrolled: 1-line block ×3, first 2 shown]
	ds_store_b16 v13, v50
	ds_store_b16 v13, v43 offset:800
	ds_store_b16 v13, v48 offset:1600
	;; [unrolled: 1-line block ×11, first 2 shown]
	global_wb scope:SCOPE_SE
	s_wait_dscnt 0x0
	s_barrier_signal -1
	s_barrier_wait -1
	global_inv scope:SCOPE_SE
	ds_load_u16 v29, v22
	ds_load_u16 v30, v23
	v_lshl_add_u32 v48, v16, 1, 0
	ds_load_u16 v28, v0
	ds_load_u16 v38, v0 offset:3200
	ds_load_u16 v39, v0 offset:3520
	ds_load_u16 v40, v0 offset:3840
	ds_load_u16 v41, v0 offset:4160
	ds_load_u16 v42, v0 offset:4480
	ds_load_u16 v43, v0 offset:4800
	ds_load_u16 v44, v0 offset:5120
	ds_load_u16 v31, v26
	ds_load_u16 v33, v48
	v_lshl_add_u32 v49, v18, 1, 0
	ds_load_u16 v35, v27
	ds_load_u16 v36, v24
	ds_load_u16 v45, v0 offset:5440
	ds_load_u16 v46, v0 offset:5760
	ds_load_u16 v32, v2
	ds_load_u16 v37, v49
	;; [unrolled: 1-line block ×3, first 2 shown]
	ds_load_u16 v47, v0 offset:6080
	v_sub_f16_e32 v10, v55, v10
	v_fma_f16 v17, v17, 2.0, -v62
	v_fma_f16 v57, v57, 2.0, -v61
	;; [unrolled: 1-line block ×5, first 2 shown]
	global_wb scope:SCOPE_SE
	s_wait_dscnt 0x0
	s_barrier_signal -1
	s_barrier_wait -1
	global_inv scope:SCOPE_SE
	ds_store_b16 v0, v55
	ds_store_b16 v0, v17 offset:800
	ds_store_b16 v0, v10 offset:1600
	ds_store_b16 v0, v62 offset:2400
	ds_store_b16 v2, v57
	ds_store_b16 v2, v19 offset:800
	ds_store_b16 v2, v61 offset:1600
	ds_store_b16 v2, v63 offset:2400
	;; [unrolled: 4-line block ×3, first 2 shown]
	ds_store_b16 v60, v54 offset:3360
	ds_store_b16 v60, v68 offset:4160
	;; [unrolled: 1-line block ×8, first 2 shown]
	global_wb scope:SCOPE_SE
	s_wait_dscnt 0x0
	s_barrier_signal -1
	s_barrier_wait -1
	global_inv scope:SCOPE_SE
	s_and_saveexec_b32 s0, vcc_lo
	s_cbranch_execz .LBB0_15
; %bb.14:
	v_dual_mov_b32 v19, v20 :: v_dual_mov_b32 v10, v20
	v_mov_b32_e32 v13, v20
	v_dual_mov_b32 v17, v20 :: v_dual_mov_b32 v2, v20
	s_delay_alu instid0(VALU_DEP_3) | instskip(NEXT) | instid1(VALU_DEP_2)
	v_lshlrev_b64_e32 v[18:19], 2, v[18:19]
	v_lshlrev_b64_e32 v[50:51], 2, v[16:17]
	v_mov_b32_e32 v16, v20
	v_lshlrev_b64_e32 v[12:13], 2, v[12:13]
	s_delay_alu instid0(VALU_DEP_4) | instskip(SKIP_3) | instid1(VALU_DEP_4)
	v_add_co_u32 v17, vcc_lo, s8, v18
	s_wait_alu 0xfffd
	v_add_co_ci_u32_e32 v18, vcc_lo, s9, v19, vcc_lo
	v_lshlrev_b64_e32 v[54:55], 2, v[15:16]
	v_add_co_u32 v52, vcc_lo, s8, v12
	s_wait_alu 0xfffd
	v_add_co_ci_u32_e32 v53, vcc_lo, s9, v13, vcc_lo
	v_lshlrev_b64_e32 v[12:13], 2, v[9:10]
	v_mov_b32_e32 v9, v20
	v_add_co_u32 v50, vcc_lo, s8, v50
	v_mov_b32_e32 v15, v20
	s_wait_alu 0xfffd
	v_add_co_ci_u32_e32 v51, vcc_lo, s9, v51, vcc_lo
	v_add_co_u32 v56, vcc_lo, s8, v12
	v_mov_b32_e32 v12, v20
	v_lshlrev_b64_e32 v[9:10], 2, v[8:9]
	v_mov_b32_e32 v8, v20
	s_wait_alu 0xfffd
	v_add_co_ci_u32_e32 v57, vcc_lo, s9, v13, vcc_lo
	v_add_co_u32 v54, vcc_lo, s8, v54
	v_lshlrev_b64_e32 v[13:14], 2, v[14:15]
	s_wait_alu 0xfffd
	v_add_co_ci_u32_e32 v55, vcc_lo, s9, v55, vcc_lo
	v_add_co_u32 v9, vcc_lo, s8, v9
	v_lshlrev_b64_e32 v[7:8], 2, v[7:8]
	;; [unrolled: 4-line block ×4, first 2 shown]
	s_wait_alu 0xfffd
	v_add_co_ci_u32_e32 v8, vcc_lo, s9, v8, vcc_lo
	v_add_co_u32 v15, vcc_lo, s8, v15
	s_wait_alu 0xfffd
	v_add_co_ci_u32_e32 v16, vcc_lo, s9, v16, vcc_lo
	v_add_co_u32 v19, vcc_lo, s8, v19
	s_wait_alu 0xfffd
	v_add_co_ci_u32_e32 v20, vcc_lo, s9, v20, vcc_lo
	s_clause 0x9
	global_load_b32 v58, v[17:18], off offset:6360
	global_load_b32 v59, v[52:53], off offset:6360
	;; [unrolled: 1-line block ×10, first 2 shown]
	v_mul_i32_i24_e32 v7, 0xffffffee, v11
	v_mul_lo_u32 v8, s3, v5
	v_mul_lo_u32 v9, s2, v6
	v_mad_co_u64_u32 v[5:6], null, s2, v5, 0
	v_mul_hi_u32 v10, 0x51eb851f, v1
	v_add_nc_u32_e32 v11, 0xa0, v1
	v_add_nc_u32_e32 v12, 0x140, v1
	;; [unrolled: 1-line block ×5, first 2 shown]
	v_mul_hi_u32 v7, 0x51eb851f, v11
	v_lshlrev_b64_e32 v[2:3], 2, v[3:4]
	v_lshrrev_b32_e32 v4, 9, v10
	v_add3_u32 v6, v6, v9, v8
	v_mul_hi_u32 v16, 0x51eb851f, v12
	v_mul_hi_u32 v17, 0x51eb851f, v13
	v_add_nc_u32_e32 v15, 0x320, v1
	v_mul_hi_u32 v8, 0x51eb851f, v14
	v_mul_u32_u24_e32 v10, 0x640, v4
	v_lshlrev_b64_e32 v[4:5], 2, v[5:6]
	v_lshrrev_b32_e32 v6, 9, v7
	v_mul_hi_u32 v9, 0x51eb851f, v15
	v_lshrrev_b32_e32 v7, 9, v16
	v_lshrrev_b32_e32 v16, 9, v17
	v_sub_nc_u32_e32 v17, v1, v10
	v_mul_u32_u24_e32 v10, 0x640, v6
	v_lshrrev_b32_e32 v8, 9, v8
	v_mul_u32_u24_e32 v18, 0x640, v7
	v_mul_u32_u24_e32 v19, 0x640, v16
	v_lshrrev_b32_e32 v9, 9, v9
	v_sub_nc_u32_e32 v10, v11, v10
	v_mul_u32_u24_e32 v20, 0x640, v8
	ds_load_u16 v65, v27
	ds_load_u16 v66, v24
	;; [unrolled: 1-line block ×5, first 2 shown]
	ds_load_u16 v70, v0 offset:6080
	ds_load_u16 v71, v0 offset:5760
	;; [unrolled: 1-line block ×3, first 2 shown]
	ds_load_u16 v73, v49
	ds_load_u16 v74, v48
	;; [unrolled: 1-line block ×3, first 2 shown]
	v_sub_nc_u32_e32 v11, v12, v18
	v_mul_u32_u24_e32 v21, 0x640, v9
	v_mad_u32_u24 v27, 0xc80, v6, v10
	v_sub_nc_u32_e32 v12, v13, v19
	v_sub_nc_u32_e32 v13, v14, v20
	v_add_co_u32 v22, vcc_lo, s6, v4
	s_wait_alu 0xfffd
	v_add_co_ci_u32_e32 v23, vcc_lo, s7, v5, vcc_lo
	v_mad_co_u64_u32 v[4:5], null, s16, v17, 0
	v_mad_u32_u24 v48, 0xc80, v7, v11
	v_mad_co_u64_u32 v[6:7], null, s16, v27, 0
	v_add_nc_u32_e32 v25, 0x640, v17
	v_sub_nc_u32_e32 v14, v15, v21
	v_mad_u32_u24 v50, 0xc80, v16, v12
	v_mad_u32_u24 v51, 0xc80, v8, v13
	v_add_co_u32 v79, vcc_lo, v22, v2
	s_wait_alu 0xfffd
	v_add_co_ci_u32_e32 v80, vcc_lo, v23, v3, vcc_lo
	v_mad_co_u64_u32 v[2:3], null, s16, v25, 0
	v_mad_u32_u24 v81, 0xc80, v9, v14
	v_mad_co_u64_u32 v[8:9], null, s16, v48, 0
	v_mad_co_u64_u32 v[10:11], null, s16, v50, 0
	v_mad_co_u64_u32 v[12:13], null, s16, v51, 0
	v_mad_co_u64_u32 v[16:17], null, s17, v17, v[5:6]
	v_add_nc_u32_e32 v52, 0x640, v27
	v_add_nc_u32_e32 v53, 0x640, v48
	;; [unrolled: 1-line block ×4, first 2 shown]
	v_mad_co_u64_u32 v[25:26], null, s17, v25, v[3:4]
	v_mov_b32_e32 v3, v7
	v_mov_b32_e32 v7, v9
	;; [unrolled: 1-line block ×4, first 2 shown]
	v_mad_co_u64_u32 v[17:18], null, s16, v52, 0
	v_mad_co_u64_u32 v[19:20], null, s16, v53, 0
	v_mov_b32_e32 v5, v16
	v_mad_co_u64_u32 v[21:22], null, s16, v54, 0
	s_delay_alu instid0(VALU_DEP_4)
	v_dual_mov_b32 v13, v18 :: v_dual_add_nc_u32 v82, 0x640, v51
	v_mad_co_u64_u32 v[14:15], null, s16, v81, 0
	v_mad_co_u64_u32 v[26:27], null, s17, v27, v[3:4]
	;; [unrolled: 1-line block ×3, first 2 shown]
	v_mov_b32_e32 v7, v20
	v_mad_co_u64_u32 v[23:24], null, s16, v82, 0
	v_mad_co_u64_u32 v[49:50], null, s17, v50, v[9:10]
	v_mov_b32_e32 v9, v22
	v_mad_co_u64_u32 v[50:51], null, s17, v51, v[11:12]
	v_mad_co_u64_u32 v[51:52], null, s17, v52, v[13:14]
	;; [unrolled: 1-line block ×3, first 2 shown]
	s_delay_alu instid0(VALU_DEP_4)
	v_mad_co_u64_u32 v[53:54], null, s17, v54, v[9:10]
	v_mov_b32_e32 v7, v26
	ds_load_u16 v26, v0 offset:5120
	ds_load_u16 v27, v0 offset:4800
	;; [unrolled: 1-line block ×7, first 2 shown]
	ds_load_u16 v87, v0
	ds_load_u16 v77, v77
	v_mov_b32_e32 v0, v15
	v_mul_hi_u32 v78, 0x51eb851f, v76
	v_mov_b32_e32 v13, v24
	v_mov_b32_e32 v3, v25
	;; [unrolled: 1-line block ×3, first 2 shown]
	v_mad_co_u64_u32 v[15:16], null, s17, v81, v[0:1]
	s_delay_alu instid0(VALU_DEP_4)
	v_mad_co_u64_u32 v[24:25], null, s17, v82, v[13:14]
	v_lshrrev_b32_e32 v48, 9, v78
	v_mov_b32_e32 v18, v51
	v_mov_b32_e32 v20, v52
	;; [unrolled: 1-line block ×3, first 2 shown]
	v_lshlrev_b64_e32 v[4:5], 2, v[4:5]
	v_lshlrev_b64_e32 v[2:3], 2, v[2:3]
	v_lshlrev_b64_e32 v[16:17], 2, v[17:18]
	v_lshlrev_b64_e32 v[18:19], 2, v[19:20]
	v_lshlrev_b64_e32 v[20:21], 2, v[21:22]
	v_lshlrev_b64_e32 v[22:23], 2, v[23:24]
	v_mov_b32_e32 v11, v49
	v_add_nc_u32_e32 v49, 0x640, v81
	v_add_co_u32 v4, vcc_lo, v79, v4
	v_lshlrev_b64_e32 v[6:7], 2, v[6:7]
	s_wait_alu 0xfffd
	v_add_co_ci_u32_e32 v5, vcc_lo, v80, v5, vcc_lo
	v_lshlrev_b64_e32 v[8:9], 2, v[8:9]
	v_add_co_u32 v2, vcc_lo, v79, v2
	v_mov_b32_e32 v13, v50
	s_wait_alu 0xfffd
	v_add_co_ci_u32_e32 v3, vcc_lo, v80, v3, vcc_lo
	v_lshlrev_b64_e32 v[10:11], 2, v[10:11]
	v_add_co_u32 v6, vcc_lo, v79, v6
	s_wait_alu 0xfffd
	v_add_co_ci_u32_e32 v7, vcc_lo, v80, v7, vcc_lo
	v_lshlrev_b64_e32 v[12:13], 2, v[12:13]
	v_add_co_u32 v8, vcc_lo, v79, v8
	s_wait_alu 0xfffd
	v_add_co_ci_u32_e32 v9, vcc_lo, v80, v9, vcc_lo
	v_add_co_u32 v10, vcc_lo, v79, v10
	s_wait_alu 0xfffd
	v_add_co_ci_u32_e32 v11, vcc_lo, v80, v11, vcc_lo
	;; [unrolled: 3-line block ×6, first 2 shown]
	s_wait_loadcnt 0x9
	v_lshrrev_b32_e32 v0, 16, v58
	s_wait_loadcnt 0x8
	v_lshrrev_b32_e32 v24, 16, v59
	;; [unrolled: 2-line block ×5, first 2 shown]
	s_wait_dscnt 0xe
	v_mul_f16_e32 v78, v0, v70
	v_mul_f16_e32 v0, v47, v0
	s_wait_loadcnt 0x2
	v_lshrrev_b32_e32 v81, 16, v62
	s_wait_loadcnt 0x1
	v_lshrrev_b32_e32 v82, 16, v63
	;; [unrolled: 2-line block ×3, first 2 shown]
	v_fmac_f16_e32 v78, v47, v58
	v_fma_f16 v0, v58, v70, -v0
	s_wait_dscnt 0xc
	v_mul_f16_e32 v58, v25, v72
	v_mul_f16_e32 v25, v45, v25
	v_lshrrev_b32_e32 v52, 16, v57
	v_lshrrev_b32_e32 v53, 16, v61
	v_mul_f16_e32 v47, v24, v71
	v_mul_f16_e32 v24, v46, v24
	v_fmac_f16_e32 v58, v45, v60
	v_fma_f16 v25, v60, v72, -v25
	s_wait_dscnt 0x3
	v_mul_f16_e32 v60, v82, v85
	v_mul_f16_e32 v72, v39, v82
	s_wait_dscnt 0x2
	v_mul_f16_e32 v82, v88, v86
	v_mul_f16_e32 v88, v38, v88
	;; [unrolled: 1-line block ×4, first 2 shown]
	v_fmac_f16_e32 v47, v46, v59
	v_fma_f16 v24, v59, v71, -v24
	v_mul_f16_e32 v59, v52, v54
	v_mul_f16_e32 v52, v42, v52
	;; [unrolled: 1-line block ×4, first 2 shown]
	v_fmac_f16_e32 v82, v38, v64
	v_fma_f16 v38, v64, v86, -v88
	v_fmac_f16_e32 v60, v39, v63
	v_fma_f16 v39, v63, v85, -v72
	;; [unrolled: 2-line block ×5, first 2 shown]
	v_sub_f16_e32 v54, v28, v82
	s_wait_dscnt 0x1
	v_sub_f16_e32 v38, v87, v38
	v_sub_f16_e32 v53, v32, v60
	s_wait_dscnt 0x0
	v_sub_f16_e32 v39, v77, v39
	v_mul_f16_e32 v70, v50, v26
	v_sub_f16_e32 v45, v34, v45
	v_sub_f16_e32 v40, v69, v40
	;; [unrolled: 1-line block ×4, first 2 shown]
	v_fma_f16 v28, v28, 2.0, -v54
	v_fma_f16 v64, v87, 2.0, -v38
	;; [unrolled: 1-line block ×4, first 2 shown]
	v_mul_f16_e32 v50, v44, v50
	v_fmac_f16_e32 v70, v44, v56
	v_sub_f16_e32 v44, v73, v0
	v_sub_f16_e32 v0, v29, v59
	;; [unrolled: 1-line block ×3, first 2 shown]
	v_fma_f16 v34, v34, 2.0, -v45
	v_fma_f16 v62, v69, 2.0, -v40
	;; [unrolled: 1-line block ×4, first 2 shown]
	v_pack_b32_f16 v28, v28, v64
	v_pack_b32_f16 v38, v54, v38
	;; [unrolled: 1-line block ×4, first 2 shown]
	v_fma_f16 v29, v29, 2.0, -v0
	v_fma_f16 v60, v68, 2.0, -v42
	v_pack_b32_f16 v34, v34, v62
	v_pack_b32_f16 v40, v45, v40
	;; [unrolled: 1-line block ×3, first 2 shown]
	s_clause 0x6
	global_store_b32 v[4:5], v28, off
	global_store_b32 v[2:3], v38, off
	;; [unrolled: 1-line block ×7, first 2 shown]
	v_mad_co_u64_u32 v[4:5], null, s16, v49, 0
	v_add_co_u32 v2, vcc_lo, v79, v22
	v_pack_b32_f16 v41, v52, v41
	s_wait_alu 0xfffd
	v_add_co_ci_u32_e32 v3, vcc_lo, v80, v23, vcc_lo
	v_mul_u32_u24_e32 v6, 0x640, v48
	v_pack_b32_f16 v0, v0, v42
	v_pack_b32_f16 v29, v29, v60
	s_clause 0x1
	global_store_b32 v[20:21], v41, off
	global_store_b32 v[12:13], v29, off
	v_sub_nc_u32_e32 v6, v76, v6
	global_store_b32 v[2:3], v0, off
	v_mov_b32_e32 v0, v5
	v_add_nc_u32_e32 v12, 0x460, v1
	v_mul_f16_e32 v46, v51, v27
	v_mul_f16_e32 v51, v43, v51
	v_mad_u32_u24 v10, 0xc80, v48, v6
	v_mad_co_u64_u32 v[5:6], null, s17, v49, v[0:1]
	v_mul_hi_u32 v0, 0x51eb851f, v12
	v_fmac_f16_e32 v46, v43, v55
	v_fma_f16 v27, v55, v27, -v51
	v_mad_co_u64_u32 v[6:7], null, s16, v10, 0
	v_add_nc_u32_e32 v13, 0x640, v10
	v_lshlrev_b64_e32 v[2:3], 2, v[14:15]
	v_sub_f16_e32 v46, v35, v46
	v_lshrrev_b32_e32 v14, 9, v0
	v_sub_f16_e32 v27, v65, v27
	v_mad_co_u64_u32 v[8:9], null, s16, v13, 0
	v_mov_b32_e32 v0, v7
	s_delay_alu instid0(VALU_DEP_4)
	v_mul_u32_u24_e32 v15, 0x640, v14
	v_fma_f16 v35, v35, 2.0, -v46
	v_fma_f16 v59, v65, 2.0, -v27
	v_add_co_u32 v2, vcc_lo, v79, v2
	v_lshlrev_b64_e32 v[4:5], 2, v[4:5]
	v_mad_co_u64_u32 v[10:11], null, s17, v10, v[0:1]
	v_mov_b32_e32 v0, v9
	v_sub_nc_u32_e32 v9, v12, v15
	s_wait_alu 0xfffd
	v_add_co_ci_u32_e32 v3, vcc_lo, v80, v3, vcc_lo
	v_pack_b32_f16 v7, v35, v59
	v_fma_f16 v26, v56, v26, -v50
	v_mad_u32_u24 v12, 0xc80, v14, v9
	v_sub_f16_e32 v51, v30, v70
	v_sub_f16_e32 v50, v33, v58
	global_store_b32 v[2:3], v7, off
	v_add_co_u32 v2, vcc_lo, v79, v4
	s_wait_alu 0xfffd
	v_add_co_ci_u32_e32 v3, vcc_lo, v80, v5, vcc_lo
	v_mov_b32_e32 v7, v10
	v_mad_co_u64_u32 v[4:5], null, s17, v13, v[0:1]
	v_add_nc_u32_e32 v13, 0x500, v1
	v_mad_co_u64_u32 v[10:11], null, s16, v12, 0
	v_pack_b32_f16 v0, v46, v27
	v_lshlrev_b64_e32 v[5:6], 2, v[6:7]
	s_delay_alu instid0(VALU_DEP_4)
	v_mul_hi_u32 v7, 0x51eb851f, v13
	v_mov_b32_e32 v9, v4
	v_sub_f16_e32 v26, v67, v26
	global_store_b32 v[2:3], v0, off
	v_mov_b32_e32 v0, v11
	v_add_co_u32 v2, vcc_lo, v79, v5
	v_lshlrev_b64_e32 v[4:5], 2, v[8:9]
	v_lshrrev_b32_e32 v14, 9, v7
	s_wait_alu 0xfffd
	v_add_co_ci_u32_e32 v3, vcc_lo, v80, v6, vcc_lo
	v_mad_co_u64_u32 v[6:7], null, s17, v12, v[0:1]
	v_add_nc_u32_e32 v8, 0x5a0, v1
	v_fma_f16 v30, v30, 2.0, -v51
	v_fma_f16 v58, v67, 2.0, -v26
	v_mul_u32_u24_e32 v7, 0x640, v14
	v_add_co_u32 v0, vcc_lo, v79, v4
	s_wait_alu 0xfffd
	v_add_co_ci_u32_e32 v1, vcc_lo, v80, v5, vcc_lo
	v_mul_hi_u32 v5, 0x51eb851f, v8
	v_pack_b32_f16 v15, v30, v58
	v_mov_b32_e32 v11, v6
	v_sub_nc_u32_e32 v6, v13, v7
	v_pack_b32_f16 v4, v51, v26
	s_clause 0x1
	global_store_b32 v[2:3], v15, off
	global_store_b32 v[0:1], v4, off
	v_lshlrev_b64_e32 v[0:1], 2, v[10:11]
	v_mad_u32_u24 v10, 0xc80, v14, v6
	v_add_nc_u32_e32 v9, 0x640, v12
	v_lshrrev_b32_e32 v11, 9, v5
	v_sub_f16_e32 v25, v74, v25
	v_fma_f16 v33, v33, 2.0, -v50
	v_add_nc_u32_e32 v12, 0x640, v10
	v_mad_co_u64_u32 v[2:3], null, s16, v9, 0
	v_mad_co_u64_u32 v[4:5], null, s16, v10, 0
	v_mul_u32_u24_e32 v13, 0x640, v11
	s_delay_alu instid0(VALU_DEP_4) | instskip(SKIP_2) | instid1(VALU_DEP_4)
	v_mad_co_u64_u32 v[6:7], null, s16, v12, 0
	v_fma_f16 v57, v74, 2.0, -v25
	v_add_co_u32 v0, vcc_lo, v79, v0
	v_sub_nc_u32_e32 v13, v8, v13
	v_mad_co_u64_u32 v[8:9], null, s17, v9, v[3:4]
	v_mad_co_u64_u32 v[9:10], null, s17, v10, v[5:6]
	s_delay_alu instid0(VALU_DEP_3)
	v_mad_u32_u24 v13, 0xc80, v11, v13
	v_mov_b32_e32 v5, v7
	s_wait_alu 0xfffd
	v_add_co_ci_u32_e32 v1, vcc_lo, v80, v1, vcc_lo
	v_mov_b32_e32 v3, v8
	v_mad_co_u64_u32 v[10:11], null, s16, v13, 0
	v_mad_co_u64_u32 v[7:8], null, s17, v12, v[5:6]
	v_add_nc_u32_e32 v12, 0x640, v13
	v_pack_b32_f16 v14, v33, v57
	v_mov_b32_e32 v5, v9
	v_sub_f16_e32 v47, v36, v47
	v_sub_f16_e32 v24, v66, v24
	v_mad_co_u64_u32 v[8:9], null, s16, v12, 0
	global_store_b32 v[0:1], v14, off
	v_lshlrev_b64_e32 v[0:1], 2, v[2:3]
	v_mov_b32_e32 v2, v11
	v_lshlrev_b64_e32 v[4:5], 2, v[4:5]
	v_lshlrev_b64_e32 v[6:7], 2, v[6:7]
	v_sub_f16_e32 v43, v37, v78
	v_fma_f16 v36, v36, 2.0, -v47
	v_mad_co_u64_u32 v[2:3], null, s17, v13, v[2:3]
	v_mov_b32_e32 v3, v9
	v_add_co_u32 v0, vcc_lo, v79, v0
	s_wait_alu 0xfffd
	v_add_co_ci_u32_e32 v1, vcc_lo, v80, v1, vcc_lo
	s_delay_alu instid0(VALU_DEP_3) | instskip(SKIP_4) | instid1(VALU_DEP_3)
	v_mad_co_u64_u32 v[12:13], null, s17, v12, v[3:4]
	v_mov_b32_e32 v11, v2
	v_add_co_u32 v2, vcc_lo, v79, v4
	s_wait_alu 0xfffd
	v_add_co_ci_u32_e32 v3, vcc_lo, v80, v5, vcc_lo
	v_lshlrev_b64_e32 v[4:5], 2, v[10:11]
	v_mov_b32_e32 v9, v12
	v_fma_f16 v56, v66, 2.0, -v24
	v_add_co_u32 v6, vcc_lo, v79, v6
	v_fma_f16 v37, v37, 2.0, -v43
	s_delay_alu instid0(VALU_DEP_4)
	v_lshlrev_b64_e32 v[8:9], 2, v[8:9]
	v_fma_f16 v55, v73, 2.0, -v44
	s_wait_alu 0xfffd
	v_add_co_ci_u32_e32 v7, vcc_lo, v80, v7, vcc_lo
	v_add_co_u32 v4, vcc_lo, v79, v4
	v_pack_b32_f16 v14, v50, v25
	v_pack_b32_f16 v13, v36, v56
	s_wait_alu 0xfffd
	v_add_co_ci_u32_e32 v5, vcc_lo, v80, v5, vcc_lo
	v_pack_b32_f16 v10, v47, v24
	v_add_co_u32 v8, vcc_lo, v79, v8
	v_pack_b32_f16 v11, v37, v55
	s_wait_alu 0xfffd
	v_add_co_ci_u32_e32 v9, vcc_lo, v80, v9, vcc_lo
	v_pack_b32_f16 v12, v43, v44
	s_clause 0x4
	global_store_b32 v[0:1], v14, off
	global_store_b32 v[2:3], v13, off
	;; [unrolled: 1-line block ×5, first 2 shown]
.LBB0_15:
	s_nop 0
	s_sendmsg sendmsg(MSG_DEALLOC_VGPRS)
	s_endpgm
	.section	.rodata,"a",@progbits
	.p2align	6, 0x0
	.amdhsa_kernel fft_rtc_back_len3200_factors_10_10_4_4_2_wgs_160_tpt_160_halfLds_half_op_CI_CI_sbrr_dirReg
		.amdhsa_group_segment_fixed_size 0
		.amdhsa_private_segment_fixed_size 0
		.amdhsa_kernarg_size 104
		.amdhsa_user_sgpr_count 2
		.amdhsa_user_sgpr_dispatch_ptr 0
		.amdhsa_user_sgpr_queue_ptr 0
		.amdhsa_user_sgpr_kernarg_segment_ptr 1
		.amdhsa_user_sgpr_dispatch_id 0
		.amdhsa_user_sgpr_private_segment_size 0
		.amdhsa_wavefront_size32 1
		.amdhsa_uses_dynamic_stack 0
		.amdhsa_enable_private_segment 0
		.amdhsa_system_sgpr_workgroup_id_x 1
		.amdhsa_system_sgpr_workgroup_id_y 0
		.amdhsa_system_sgpr_workgroup_id_z 0
		.amdhsa_system_sgpr_workgroup_info 0
		.amdhsa_system_vgpr_workitem_id 0
		.amdhsa_next_free_vgpr 89
		.amdhsa_next_free_sgpr 43
		.amdhsa_reserve_vcc 1
		.amdhsa_float_round_mode_32 0
		.amdhsa_float_round_mode_16_64 0
		.amdhsa_float_denorm_mode_32 3
		.amdhsa_float_denorm_mode_16_64 3
		.amdhsa_fp16_overflow 0
		.amdhsa_workgroup_processor_mode 1
		.amdhsa_memory_ordered 1
		.amdhsa_forward_progress 0
		.amdhsa_round_robin_scheduling 0
		.amdhsa_exception_fp_ieee_invalid_op 0
		.amdhsa_exception_fp_denorm_src 0
		.amdhsa_exception_fp_ieee_div_zero 0
		.amdhsa_exception_fp_ieee_overflow 0
		.amdhsa_exception_fp_ieee_underflow 0
		.amdhsa_exception_fp_ieee_inexact 0
		.amdhsa_exception_int_div_zero 0
	.end_amdhsa_kernel
	.text
.Lfunc_end0:
	.size	fft_rtc_back_len3200_factors_10_10_4_4_2_wgs_160_tpt_160_halfLds_half_op_CI_CI_sbrr_dirReg, .Lfunc_end0-fft_rtc_back_len3200_factors_10_10_4_4_2_wgs_160_tpt_160_halfLds_half_op_CI_CI_sbrr_dirReg
                                        ; -- End function
	.section	.AMDGPU.csdata,"",@progbits
; Kernel info:
; codeLenInByte = 15832
; NumSgprs: 45
; NumVgprs: 89
; ScratchSize: 0
; MemoryBound: 0
; FloatMode: 240
; IeeeMode: 1
; LDSByteSize: 0 bytes/workgroup (compile time only)
; SGPRBlocks: 5
; VGPRBlocks: 11
; NumSGPRsForWavesPerEU: 45
; NumVGPRsForWavesPerEU: 89
; Occupancy: 15
; WaveLimiterHint : 1
; COMPUTE_PGM_RSRC2:SCRATCH_EN: 0
; COMPUTE_PGM_RSRC2:USER_SGPR: 2
; COMPUTE_PGM_RSRC2:TRAP_HANDLER: 0
; COMPUTE_PGM_RSRC2:TGID_X_EN: 1
; COMPUTE_PGM_RSRC2:TGID_Y_EN: 0
; COMPUTE_PGM_RSRC2:TGID_Z_EN: 0
; COMPUTE_PGM_RSRC2:TIDIG_COMP_CNT: 0
	.text
	.p2alignl 7, 3214868480
	.fill 96, 4, 3214868480
	.type	__hip_cuid_cd702b44d32fc72c,@object ; @__hip_cuid_cd702b44d32fc72c
	.section	.bss,"aw",@nobits
	.globl	__hip_cuid_cd702b44d32fc72c
__hip_cuid_cd702b44d32fc72c:
	.byte	0                               ; 0x0
	.size	__hip_cuid_cd702b44d32fc72c, 1

	.ident	"AMD clang version 19.0.0git (https://github.com/RadeonOpenCompute/llvm-project roc-6.4.0 25133 c7fe45cf4b819c5991fe208aaa96edf142730f1d)"
	.section	".note.GNU-stack","",@progbits
	.addrsig
	.addrsig_sym __hip_cuid_cd702b44d32fc72c
	.amdgpu_metadata
---
amdhsa.kernels:
  - .args:
      - .actual_access:  read_only
        .address_space:  global
        .offset:         0
        .size:           8
        .value_kind:     global_buffer
      - .offset:         8
        .size:           8
        .value_kind:     by_value
      - .actual_access:  read_only
        .address_space:  global
        .offset:         16
        .size:           8
        .value_kind:     global_buffer
      - .actual_access:  read_only
        .address_space:  global
        .offset:         24
        .size:           8
        .value_kind:     global_buffer
      - .actual_access:  read_only
        .address_space:  global
        .offset:         32
        .size:           8
        .value_kind:     global_buffer
      - .offset:         40
        .size:           8
        .value_kind:     by_value
      - .actual_access:  read_only
        .address_space:  global
        .offset:         48
        .size:           8
        .value_kind:     global_buffer
      - .actual_access:  read_only
        .address_space:  global
        .offset:         56
        .size:           8
        .value_kind:     global_buffer
      - .offset:         64
        .size:           4
        .value_kind:     by_value
      - .actual_access:  read_only
        .address_space:  global
        .offset:         72
        .size:           8
        .value_kind:     global_buffer
      - .actual_access:  read_only
        .address_space:  global
        .offset:         80
        .size:           8
        .value_kind:     global_buffer
      - .actual_access:  read_only
        .address_space:  global
        .offset:         88
        .size:           8
        .value_kind:     global_buffer
      - .actual_access:  write_only
        .address_space:  global
        .offset:         96
        .size:           8
        .value_kind:     global_buffer
    .group_segment_fixed_size: 0
    .kernarg_segment_align: 8
    .kernarg_segment_size: 104
    .language:       OpenCL C
    .language_version:
      - 2
      - 0
    .max_flat_workgroup_size: 160
    .name:           fft_rtc_back_len3200_factors_10_10_4_4_2_wgs_160_tpt_160_halfLds_half_op_CI_CI_sbrr_dirReg
    .private_segment_fixed_size: 0
    .sgpr_count:     45
    .sgpr_spill_count: 0
    .symbol:         fft_rtc_back_len3200_factors_10_10_4_4_2_wgs_160_tpt_160_halfLds_half_op_CI_CI_sbrr_dirReg.kd
    .uniform_work_group_size: 1
    .uses_dynamic_stack: false
    .vgpr_count:     89
    .vgpr_spill_count: 0
    .wavefront_size: 32
    .workgroup_processor_mode: 1
amdhsa.target:   amdgcn-amd-amdhsa--gfx1201
amdhsa.version:
  - 1
  - 2
...

	.end_amdgpu_metadata
